;; amdgpu-corpus repo=ROCm/rocFFT kind=compiled arch=gfx906 opt=O3
	.text
	.amdgcn_target "amdgcn-amd-amdhsa--gfx906"
	.amdhsa_code_object_version 6
	.protected	fft_rtc_fwd_len676_factors_13_13_4_wgs_52_tpt_52_dp_ip_CI_unitstride_sbrr_R2C_dirReg ; -- Begin function fft_rtc_fwd_len676_factors_13_13_4_wgs_52_tpt_52_dp_ip_CI_unitstride_sbrr_R2C_dirReg
	.globl	fft_rtc_fwd_len676_factors_13_13_4_wgs_52_tpt_52_dp_ip_CI_unitstride_sbrr_R2C_dirReg
	.p2align	8
	.type	fft_rtc_fwd_len676_factors_13_13_4_wgs_52_tpt_52_dp_ip_CI_unitstride_sbrr_R2C_dirReg,@function
fft_rtc_fwd_len676_factors_13_13_4_wgs_52_tpt_52_dp_ip_CI_unitstride_sbrr_R2C_dirReg: ; @fft_rtc_fwd_len676_factors_13_13_4_wgs_52_tpt_52_dp_ip_CI_unitstride_sbrr_R2C_dirReg
; %bb.0:
	s_load_dwordx2 s[12:13], s[4:5], 0x50
	s_load_dwordx4 s[8:11], s[4:5], 0x0
	s_load_dwordx2 s[2:3], s[4:5], 0x18
	v_mul_u32_u24_e32 v1, 0x4ed, v0
	v_add_u32_sdwa v5, s6, v1 dst_sel:DWORD dst_unused:UNUSED_PAD src0_sel:DWORD src1_sel:WORD_1
	v_mov_b32_e32 v3, 0
	s_waitcnt lgkmcnt(0)
	v_cmp_lt_u64_e64 s[0:1], s[10:11], 2
	v_mov_b32_e32 v1, 0
	v_mov_b32_e32 v6, v3
	s_and_b64 vcc, exec, s[0:1]
	v_mov_b32_e32 v2, 0
	s_cbranch_vccnz .LBB0_8
; %bb.1:
	s_load_dwordx2 s[0:1], s[4:5], 0x10
	s_add_u32 s6, s2, 8
	s_addc_u32 s7, s3, 0
	v_mov_b32_e32 v1, 0
	v_mov_b32_e32 v2, 0
	s_waitcnt lgkmcnt(0)
	s_add_u32 s14, s0, 8
	s_addc_u32 s15, s1, 0
	s_mov_b64 s[16:17], 1
.LBB0_2:                                ; =>This Inner Loop Header: Depth=1
	s_load_dwordx2 s[18:19], s[14:15], 0x0
                                        ; implicit-def: $vgpr7_vgpr8
	s_waitcnt lgkmcnt(0)
	v_or_b32_e32 v4, s19, v6
	v_cmp_ne_u64_e32 vcc, 0, v[3:4]
	s_and_saveexec_b64 s[0:1], vcc
	s_xor_b64 s[20:21], exec, s[0:1]
	s_cbranch_execz .LBB0_4
; %bb.3:                                ;   in Loop: Header=BB0_2 Depth=1
	v_cvt_f32_u32_e32 v4, s18
	v_cvt_f32_u32_e32 v7, s19
	s_sub_u32 s0, 0, s18
	s_subb_u32 s1, 0, s19
	v_mac_f32_e32 v4, 0x4f800000, v7
	v_rcp_f32_e32 v4, v4
	v_mul_f32_e32 v4, 0x5f7ffffc, v4
	v_mul_f32_e32 v7, 0x2f800000, v4
	v_trunc_f32_e32 v7, v7
	v_mac_f32_e32 v4, 0xcf800000, v7
	v_cvt_u32_f32_e32 v7, v7
	v_cvt_u32_f32_e32 v4, v4
	v_mul_lo_u32 v8, s0, v7
	v_mul_hi_u32 v9, s0, v4
	v_mul_lo_u32 v11, s1, v4
	v_mul_lo_u32 v10, s0, v4
	v_add_u32_e32 v8, v9, v8
	v_add_u32_e32 v8, v8, v11
	v_mul_hi_u32 v9, v4, v10
	v_mul_lo_u32 v11, v4, v8
	v_mul_hi_u32 v13, v4, v8
	v_mul_hi_u32 v12, v7, v10
	v_mul_lo_u32 v10, v7, v10
	v_mul_hi_u32 v14, v7, v8
	v_add_co_u32_e32 v9, vcc, v9, v11
	v_addc_co_u32_e32 v11, vcc, 0, v13, vcc
	v_mul_lo_u32 v8, v7, v8
	v_add_co_u32_e32 v9, vcc, v9, v10
	v_addc_co_u32_e32 v9, vcc, v11, v12, vcc
	v_addc_co_u32_e32 v10, vcc, 0, v14, vcc
	v_add_co_u32_e32 v8, vcc, v9, v8
	v_addc_co_u32_e32 v9, vcc, 0, v10, vcc
	v_add_co_u32_e32 v4, vcc, v4, v8
	v_addc_co_u32_e32 v7, vcc, v7, v9, vcc
	v_mul_lo_u32 v8, s0, v7
	v_mul_hi_u32 v9, s0, v4
	v_mul_lo_u32 v10, s1, v4
	v_mul_lo_u32 v11, s0, v4
	v_add_u32_e32 v8, v9, v8
	v_add_u32_e32 v8, v8, v10
	v_mul_lo_u32 v12, v4, v8
	v_mul_hi_u32 v13, v4, v11
	v_mul_hi_u32 v14, v4, v8
	;; [unrolled: 1-line block ×3, first 2 shown]
	v_mul_lo_u32 v11, v7, v11
	v_mul_hi_u32 v9, v7, v8
	v_add_co_u32_e32 v12, vcc, v13, v12
	v_addc_co_u32_e32 v13, vcc, 0, v14, vcc
	v_mul_lo_u32 v8, v7, v8
	v_add_co_u32_e32 v11, vcc, v12, v11
	v_addc_co_u32_e32 v10, vcc, v13, v10, vcc
	v_addc_co_u32_e32 v9, vcc, 0, v9, vcc
	v_add_co_u32_e32 v8, vcc, v10, v8
	v_addc_co_u32_e32 v9, vcc, 0, v9, vcc
	v_add_co_u32_e32 v4, vcc, v4, v8
	v_addc_co_u32_e32 v9, vcc, v7, v9, vcc
	v_mad_u64_u32 v[7:8], s[0:1], v5, v9, 0
	v_mul_hi_u32 v10, v5, v4
	v_add_co_u32_e32 v11, vcc, v10, v7
	v_addc_co_u32_e32 v12, vcc, 0, v8, vcc
	v_mad_u64_u32 v[7:8], s[0:1], v6, v4, 0
	v_mad_u64_u32 v[9:10], s[0:1], v6, v9, 0
	v_add_co_u32_e32 v4, vcc, v11, v7
	v_addc_co_u32_e32 v4, vcc, v12, v8, vcc
	v_addc_co_u32_e32 v7, vcc, 0, v10, vcc
	v_add_co_u32_e32 v4, vcc, v4, v9
	v_addc_co_u32_e32 v9, vcc, 0, v7, vcc
	v_mul_lo_u32 v10, s19, v4
	v_mul_lo_u32 v11, s18, v9
	v_mad_u64_u32 v[7:8], s[0:1], s18, v4, 0
	v_add3_u32 v8, v8, v11, v10
	v_sub_u32_e32 v10, v6, v8
	v_mov_b32_e32 v11, s19
	v_sub_co_u32_e32 v7, vcc, v5, v7
	v_subb_co_u32_e64 v10, s[0:1], v10, v11, vcc
	v_subrev_co_u32_e64 v11, s[0:1], s18, v7
	v_subbrev_co_u32_e64 v10, s[0:1], 0, v10, s[0:1]
	v_cmp_le_u32_e64 s[0:1], s19, v10
	v_cndmask_b32_e64 v12, 0, -1, s[0:1]
	v_cmp_le_u32_e64 s[0:1], s18, v11
	v_cndmask_b32_e64 v11, 0, -1, s[0:1]
	v_cmp_eq_u32_e64 s[0:1], s19, v10
	v_cndmask_b32_e64 v10, v12, v11, s[0:1]
	v_add_co_u32_e64 v11, s[0:1], 2, v4
	v_addc_co_u32_e64 v12, s[0:1], 0, v9, s[0:1]
	v_add_co_u32_e64 v13, s[0:1], 1, v4
	v_addc_co_u32_e64 v14, s[0:1], 0, v9, s[0:1]
	v_subb_co_u32_e32 v8, vcc, v6, v8, vcc
	v_cmp_ne_u32_e64 s[0:1], 0, v10
	v_cmp_le_u32_e32 vcc, s19, v8
	v_cndmask_b32_e64 v10, v14, v12, s[0:1]
	v_cndmask_b32_e64 v12, 0, -1, vcc
	v_cmp_le_u32_e32 vcc, s18, v7
	v_cndmask_b32_e64 v7, 0, -1, vcc
	v_cmp_eq_u32_e32 vcc, s19, v8
	v_cndmask_b32_e32 v7, v12, v7, vcc
	v_cmp_ne_u32_e32 vcc, 0, v7
	v_cndmask_b32_e64 v7, v13, v11, s[0:1]
	v_cndmask_b32_e32 v8, v9, v10, vcc
	v_cndmask_b32_e32 v7, v4, v7, vcc
.LBB0_4:                                ;   in Loop: Header=BB0_2 Depth=1
	s_andn2_saveexec_b64 s[0:1], s[20:21]
	s_cbranch_execz .LBB0_6
; %bb.5:                                ;   in Loop: Header=BB0_2 Depth=1
	v_cvt_f32_u32_e32 v4, s18
	s_sub_i32 s20, 0, s18
	v_rcp_iflag_f32_e32 v4, v4
	v_mul_f32_e32 v4, 0x4f7ffffe, v4
	v_cvt_u32_f32_e32 v4, v4
	v_mul_lo_u32 v7, s20, v4
	v_mul_hi_u32 v7, v4, v7
	v_add_u32_e32 v4, v4, v7
	v_mul_hi_u32 v4, v5, v4
	v_mul_lo_u32 v7, v4, s18
	v_add_u32_e32 v8, 1, v4
	v_sub_u32_e32 v7, v5, v7
	v_subrev_u32_e32 v9, s18, v7
	v_cmp_le_u32_e32 vcc, s18, v7
	v_cndmask_b32_e32 v7, v7, v9, vcc
	v_cndmask_b32_e32 v4, v4, v8, vcc
	v_add_u32_e32 v8, 1, v4
	v_cmp_le_u32_e32 vcc, s18, v7
	v_cndmask_b32_e32 v7, v4, v8, vcc
	v_mov_b32_e32 v8, v3
.LBB0_6:                                ;   in Loop: Header=BB0_2 Depth=1
	s_or_b64 exec, exec, s[0:1]
	v_mul_lo_u32 v4, v8, s18
	v_mul_lo_u32 v11, v7, s19
	v_mad_u64_u32 v[9:10], s[0:1], v7, s18, 0
	s_load_dwordx2 s[0:1], s[6:7], 0x0
	s_add_u32 s16, s16, 1
	v_add3_u32 v4, v10, v11, v4
	v_sub_co_u32_e32 v5, vcc, v5, v9
	v_subb_co_u32_e32 v4, vcc, v6, v4, vcc
	s_waitcnt lgkmcnt(0)
	v_mul_lo_u32 v4, s0, v4
	v_mul_lo_u32 v6, s1, v5
	v_mad_u64_u32 v[1:2], s[0:1], s0, v5, v[1:2]
	s_addc_u32 s17, s17, 0
	s_add_u32 s6, s6, 8
	v_add3_u32 v2, v6, v2, v4
	v_mov_b32_e32 v4, s10
	v_mov_b32_e32 v5, s11
	s_addc_u32 s7, s7, 0
	v_cmp_ge_u64_e32 vcc, s[16:17], v[4:5]
	s_add_u32 s14, s14, 8
	s_addc_u32 s15, s15, 0
	s_cbranch_vccnz .LBB0_9
; %bb.7:                                ;   in Loop: Header=BB0_2 Depth=1
	v_mov_b32_e32 v5, v7
	v_mov_b32_e32 v6, v8
	s_branch .LBB0_2
.LBB0_8:
	v_mov_b32_e32 v8, v6
	v_mov_b32_e32 v7, v5
.LBB0_9:
	s_lshl_b64 s[0:1], s[10:11], 3
	s_add_u32 s0, s2, s0
	s_addc_u32 s1, s3, s1
	s_load_dwordx2 s[2:3], s[0:1], 0x0
	s_load_dwordx2 s[6:7], s[4:5], 0x20
                                        ; implicit-def: $vgpr71
                                        ; implicit-def: $vgpr70
	s_waitcnt lgkmcnt(0)
	v_mad_u64_u32 v[1:2], s[0:1], s2, v7, v[1:2]
	s_mov_b32 s0, 0x4ec4ec5
	v_mul_lo_u32 v3, s2, v8
	v_mul_lo_u32 v4, s3, v7
	v_mul_hi_u32 v5, v0, s0
	v_cmp_gt_u64_e64 s[0:1], s[6:7], v[7:8]
	v_cmp_le_u64_e32 vcc, s[6:7], v[7:8]
	v_add3_u32 v2, v4, v2, v3
	v_mul_u32_u24_e32 v3, 52, v5
	v_sub_u32_e32 v64, v0, v3
	v_add_u32_e32 v68, 52, v64
	s_and_saveexec_b64 s[2:3], vcc
	s_xor_b64 s[2:3], exec, s[2:3]
; %bb.10:
	v_add_u32_e32 v68, 52, v64
	v_add_u32_e32 v71, 0x68, v64
	;; [unrolled: 1-line block ×3, first 2 shown]
; %bb.11:
	s_or_saveexec_b64 s[2:3], s[2:3]
	v_lshlrev_b64 v[66:67], 4, v[1:2]
	v_lshl_add_u32 v74, v64, 4, 0
	s_xor_b64 exec, exec, s[2:3]
	s_cbranch_execz .LBB0_13
; %bb.12:
	v_mov_b32_e32 v65, 0
	v_mov_b32_e32 v0, s13
	v_add_co_u32_e32 v2, vcc, s12, v66
	v_addc_co_u32_e32 v3, vcc, v0, v67, vcc
	v_lshlrev_b64 v[0:1], 4, v[64:65]
	s_movk_i32 s4, 0x1000
	v_add_co_u32_e32 v31, vcc, v2, v0
	v_addc_co_u32_e32 v32, vcc, v3, v1, vcc
	v_add_co_u32_e32 v52, vcc, s4, v31
	v_addc_co_u32_e32 v53, vcc, 0, v32, vcc
	v_add_co_u32_e32 v54, vcc, 0x2000, v31
	global_load_dwordx4 v[0:3], v[31:32], off
	global_load_dwordx4 v[4:7], v[31:32], off offset:832
	global_load_dwordx4 v[8:11], v[31:32], off offset:1664
	;; [unrolled: 1-line block ×6, first 2 shown]
	s_nop 0
	global_load_dwordx4 v[28:31], v[52:53], off offset:1728
	v_addc_co_u32_e32 v55, vcc, 0, v32, vcc
	global_load_dwordx4 v[32:35], v[52:53], off offset:2560
	global_load_dwordx4 v[36:39], v[52:53], off offset:3392
	;; [unrolled: 1-line block ×5, first 2 shown]
	v_add_u32_e32 v71, 0x68, v64
	v_add_u32_e32 v70, 0x9c, v64
	s_waitcnt vmcnt(12)
	ds_write_b128 v74, v[0:3]
	s_waitcnt vmcnt(11)
	ds_write_b128 v74, v[4:7] offset:832
	s_waitcnt vmcnt(10)
	ds_write_b128 v74, v[8:11] offset:1664
	;; [unrolled: 2-line block ×12, first 2 shown]
.LBB0_13:
	s_or_b64 exec, exec, s[2:3]
	s_waitcnt lgkmcnt(0)
	; wave barrier
	s_waitcnt lgkmcnt(0)
	ds_read_b128 v[0:3], v74
	ds_read_b128 v[4:7], v74 offset:832
	ds_read_b128 v[8:11], v74 offset:1664
	;; [unrolled: 1-line block ×5, first 2 shown]
	s_mov_b32 s20, 0x42a4c3d2
	s_mov_b32 s6, 0x2ef20147
	;; [unrolled: 1-line block ×3, first 2 shown]
	s_waitcnt lgkmcnt(4)
	v_add_f64 v[24:25], v[0:1], v[4:5]
	v_add_f64 v[26:27], v[2:3], v[6:7]
	s_mov_b32 s7, 0xbfedeba7
	s_mov_b32 s42, 0x4267c47c
	s_mov_b32 s4, 0x1ea71119
	s_mov_b32 s24, 0x66966769
	s_mov_b32 s14, 0xb2365da1
	s_mov_b32 s16, 0x24c2f84
	s_waitcnt lgkmcnt(3)
	v_add_f64 v[32:33], v[24:25], v[8:9]
	v_add_f64 v[34:35], v[26:27], v[10:11]
	ds_read_b128 v[28:31], v74 offset:4992
	ds_read_b128 v[24:27], v74 offset:5824
	;; [unrolled: 1-line block ×7, first 2 shown]
	s_waitcnt lgkmcnt(4)
	v_add_f64 v[36:37], v[20:21], v[40:41]
	s_mov_b32 s28, 0x4bc48dbf
	s_mov_b32 s43, 0xbfddbe06
	;; [unrolled: 1-line block ×3, first 2 shown]
	s_waitcnt lgkmcnt(0)
	v_add_f64 v[77:78], v[6:7], -v[62:63]
	v_add_f64 v[32:33], v[32:33], v[12:13]
	v_add_f64 v[34:35], v[34:35], v[14:15]
	s_mov_b32 s25, 0xbfefc445
	s_mov_b32 s15, 0xbfd6b1d8
	;; [unrolled: 1-line block ×5, first 2 shown]
	v_mul_f64 v[79:80], v[77:78], s[6:7]
	v_add_f64 v[32:33], v[32:33], v[16:17]
	v_add_f64 v[34:35], v[34:35], v[18:19]
	v_mul_f64 v[81:82], v[77:78], s[16:17]
	s_mov_b32 s2, 0xebaa3ed8
	s_mov_b32 s18, 0xd0032e0c
	;; [unrolled: 1-line block ×5, first 2 shown]
	v_add_f64 v[32:33], v[32:33], v[20:21]
	v_add_f64 v[34:35], v[34:35], v[22:23]
	v_add_f64 v[20:21], v[20:21], -v[40:41]
	s_mov_b32 s19, 0xbfe7f3cc
	s_mov_b32 s23, 0xbfef11f4
	;; [unrolled: 1-line block ×5, first 2 shown]
	v_add_f64 v[38:39], v[32:33], v[28:29]
	v_add_f64 v[44:45], v[34:35], v[30:31]
	;; [unrolled: 1-line block ×3, first 2 shown]
	v_add_f64 v[30:31], v[30:31], -v[26:27]
	v_add_f64 v[34:35], v[28:29], v[24:25]
	v_add_f64 v[28:29], v[28:29], -v[24:25]
	s_mov_b32 s26, s24
	s_mov_b32 s31, 0x3fddbe06
	v_add_f64 v[50:51], v[38:39], v[24:25]
	v_add_f64 v[44:45], v[44:45], v[26:27]
	;; [unrolled: 1-line block ×3, first 2 shown]
	v_add_f64 v[16:17], v[16:17], -v[46:47]
	v_add_f64 v[38:39], v[18:19], v[48:49]
	v_add_f64 v[18:19], v[18:19], -v[48:49]
	v_add_f64 v[24:25], v[22:23], v[42:43]
	;; [unrolled: 2-line block ×3, first 2 shown]
	v_add_f64 v[72:73], v[44:45], v[42:43]
	v_add_f64 v[40:41], v[12:13], v[52:53]
	v_add_f64 v[12:13], v[12:13], -v[52:53]
	v_add_f64 v[44:45], v[8:9], v[56:57]
	v_add_f64 v[42:43], v[14:15], v[54:55]
	v_add_f64 v[14:15], v[14:15], -v[54:55]
	v_mul_f64 v[119:120], v[16:17], s[6:7]
	v_add_f64 v[75:76], v[50:51], v[46:47]
	v_add_f64 v[72:73], v[72:73], v[48:49]
	;; [unrolled: 1-line block ×3, first 2 shown]
	v_add_f64 v[50:51], v[10:11], -v[58:59]
	v_add_f64 v[10:11], v[6:7], v[62:63]
	v_add_f64 v[48:49], v[8:9], -v[56:57]
	v_add_f64 v[8:9], v[4:5], v[60:61]
	v_mul_f64 v[113:114], v[14:15], s[24:25]
	v_add_f64 v[6:7], v[75:76], v[52:53]
	v_add_f64 v[52:53], v[72:73], v[54:55]
	v_add_f64 v[72:73], v[4:5], -v[60:61]
	v_mul_f64 v[4:5], v[77:78], s[20:21]
	v_mul_f64 v[54:55], v[77:78], s[42:43]
	v_mul_f64 v[75:76], v[77:78], s[24:25]
	v_mul_f64 v[107:108], v[48:49], s[20:21]
	v_mul_f64 v[115:116], v[12:13], s[24:25]
	v_add_f64 v[6:7], v[6:7], v[56:57]
	v_add_f64 v[52:53], v[52:53], v[58:59]
	v_mul_f64 v[89:90], v[72:73], s[20:21]
	v_fma_f64 v[58:59], v[8:9], s[4:5], -v[4:5]
	v_fma_f64 v[83:84], v[8:9], s[4:5], v[4:5]
	v_fma_f64 v[56:57], v[8:9], s[10:11], -v[54:55]
	v_fma_f64 v[54:55], v[8:9], s[10:11], v[54:55]
	v_fma_f64 v[85:86], v[8:9], s[2:3], -v[75:76]
	v_add_f64 v[4:5], v[6:7], v[60:61]
	v_add_f64 v[6:7], v[52:53], v[62:63]
	v_mul_f64 v[52:53], v[77:78], s[28:29]
	v_fma_f64 v[60:61], v[8:9], s[14:15], -v[79:80]
	v_fma_f64 v[62:63], v[8:9], s[14:15], v[79:80]
	v_mul_f64 v[79:80], v[72:73], s[42:43]
	v_fma_f64 v[75:76], v[8:9], s[2:3], v[75:76]
	v_fma_f64 v[77:78], v[8:9], s[18:19], -v[81:82]
	v_fma_f64 v[81:82], v[8:9], s[18:19], v[81:82]
	v_mul_f64 v[93:94], v[72:73], s[6:7]
	v_fma_f64 v[87:88], v[8:9], s[22:23], -v[52:53]
	v_fma_f64 v[8:9], v[8:9], s[22:23], v[52:53]
	v_mul_f64 v[52:53], v[72:73], s[24:25]
	v_fma_f64 v[91:92], v[10:11], s[10:11], v[79:80]
	v_mul_f64 v[95:96], v[72:73], s[16:17]
	v_mul_f64 v[72:73], v[72:73], s[28:29]
	v_fma_f64 v[79:80], v[10:11], s[10:11], -v[79:80]
	v_fma_f64 v[97:98], v[10:11], s[4:5], v[89:90]
	v_fma_f64 v[89:90], v[10:11], s[4:5], -v[89:90]
	v_fma_f64 v[101:102], v[10:11], s[14:15], v[93:94]
	v_fma_f64 v[99:100], v[10:11], s[2:3], v[52:53]
	v_fma_f64 v[52:53], v[10:11], s[2:3], -v[52:53]
	v_fma_f64 v[93:94], v[10:11], s[14:15], -v[93:94]
	v_fma_f64 v[103:104], v[10:11], s[18:19], v[95:96]
	v_fma_f64 v[95:96], v[10:11], s[18:19], -v[95:96]
	v_fma_f64 v[105:106], v[10:11], s[22:23], v[72:73]
	v_fma_f64 v[10:11], v[10:11], s[22:23], -v[72:73]
	v_add_f64 v[72:73], v[2:3], v[91:92]
	v_mul_f64 v[91:92], v[50:51], s[20:21]
	v_add_f64 v[56:57], v[0:1], v[56:57]
	v_fma_f64 v[111:112], v[46:47], s[4:5], v[107:108]
	v_add_f64 v[117:118], v[2:3], v[52:53]
	v_add_f64 v[121:122], v[0:1], v[60:61]
	v_add_f64 v[123:124], v[0:1], v[62:63]
	v_fma_f64 v[62:63], v[38:39], s[14:15], v[119:120]
	v_add_f64 v[54:55], v[0:1], v[54:55]
	v_fma_f64 v[109:110], v[44:45], s[4:5], -v[91:92]
	v_add_f64 v[79:80], v[2:3], v[79:80]
	v_add_f64 v[125:126], v[0:1], v[81:82]
	v_fma_f64 v[81:82], v[46:47], s[4:5], -v[107:108]
	v_add_f64 v[58:59], v[0:1], v[58:59]
	v_add_f64 v[97:98], v[2:3], v[97:98]
	;; [unrolled: 1-line block ×6, first 2 shown]
	v_fma_f64 v[72:73], v[40:41], s[2:3], -v[113:114]
	v_fma_f64 v[109:110], v[42:43], s[2:3], v[115:116]
	v_mul_f64 v[111:112], v[18:19], s[6:7]
	v_add_f64 v[79:80], v[81:82], v[79:80]
	v_mul_f64 v[81:82], v[28:29], s[28:29]
	v_add_f64 v[85:86], v[0:1], v[85:86]
	v_add_f64 v[99:100], v[2:3], v[99:100]
	;; [unrolled: 1-line block ×5, first 2 shown]
	v_fma_f64 v[60:61], v[26:27], s[14:15], -v[111:112]
	v_mul_f64 v[72:73], v[22:23], s[16:17]
	v_add_f64 v[109:110], v[0:1], v[77:78]
	v_fma_f64 v[77:78], v[44:45], s[4:5], v[91:92]
	v_add_f64 v[91:92], v[2:3], v[95:96]
	v_mul_f64 v[95:96], v[30:31], s[28:29]
	v_add_f64 v[101:102], v[2:3], v[101:102]
	v_add_f64 v[56:57], v[62:63], v[56:57]
	;; [unrolled: 1-line block ×3, first 2 shown]
	v_fma_f64 v[60:61], v[36:37], s[18:19], -v[72:73]
	v_mul_f64 v[62:63], v[20:21], s[16:17]
	v_add_f64 v[54:55], v[77:78], v[54:55]
	v_fma_f64 v[77:78], v[40:41], s[2:3], v[113:114]
	v_add_f64 v[93:94], v[2:3], v[93:94]
	v_add_f64 v[103:104], v[2:3], v[103:104]
	;; [unrolled: 1-line block ×5, first 2 shown]
	v_fma_f64 v[60:61], v[24:25], s[18:19], v[62:63]
	v_add_f64 v[107:108], v[0:1], v[8:9]
	v_add_f64 v[8:9], v[77:78], v[54:55]
	v_fma_f64 v[0:1], v[34:35], s[22:23], -v[95:96]
	v_fma_f64 v[54:55], v[42:43], s[2:3], -v[115:116]
	v_fma_f64 v[77:78], v[26:27], s[14:15], v[111:112]
	v_add_f64 v[111:112], v[2:3], v[10:11]
	v_fma_f64 v[10:11], v[32:33], s[22:23], v[81:82]
	v_add_f64 v[2:3], v[60:61], v[56:57]
	v_mul_f64 v[56:57], v[50:51], s[6:7]
	v_mul_f64 v[60:61], v[48:49], s[6:7]
	v_add_f64 v[0:1], v[0:1], v[52:53]
	v_add_f64 v[52:53], v[54:55], v[79:80]
	;; [unrolled: 1-line block ×3, first 2 shown]
	v_fma_f64 v[54:55], v[38:39], s[14:15], -v[119:120]
	v_fma_f64 v[72:73], v[36:37], s[18:19], v[72:73]
	v_add_f64 v[2:3], v[10:11], v[2:3]
	v_fma_f64 v[10:11], v[44:45], s[14:15], -v[56:57]
	v_fma_f64 v[77:78], v[46:47], s[14:15], v[60:61]
	v_mul_f64 v[79:80], v[14:15], s[28:29]
	v_mul_f64 v[113:114], v[12:13], s[28:29]
	v_fma_f64 v[56:57], v[44:45], s[14:15], v[56:57]
	v_add_f64 v[52:53], v[54:55], v[52:53]
	v_add_f64 v[8:9], v[72:73], v[8:9]
	v_fma_f64 v[54:55], v[24:25], s[18:19], -v[62:63]
	v_add_f64 v[10:11], v[10:11], v[58:59]
	v_add_f64 v[58:59], v[77:78], v[97:98]
	v_fma_f64 v[62:63], v[40:41], s[22:23], -v[79:80]
	v_fma_f64 v[72:73], v[42:43], s[22:23], v[113:114]
	v_mul_f64 v[77:78], v[18:19], s[34:35]
	v_mul_f64 v[97:98], v[16:17], s[34:35]
	s_mov_b32 s30, s42
	v_add_f64 v[52:53], v[54:55], v[52:53]
	v_add_f64 v[56:57], v[56:57], v[83:84]
	v_fma_f64 v[60:61], v[46:47], s[14:15], -v[60:61]
	v_add_f64 v[10:11], v[62:63], v[10:11]
	v_add_f64 v[54:55], v[72:73], v[58:59]
	v_fma_f64 v[58:59], v[26:27], s[18:19], -v[77:78]
	v_fma_f64 v[62:63], v[38:39], s[18:19], v[97:98]
	v_mul_f64 v[72:73], v[22:23], s[26:27]
	v_mul_f64 v[83:84], v[30:31], s[30:31]
	v_fma_f64 v[79:80], v[40:41], s[22:23], v[79:80]
	v_fma_f64 v[81:82], v[32:33], s[22:23], -v[81:82]
	v_add_f64 v[60:61], v[60:61], v[89:90]
	v_fma_f64 v[113:114], v[42:43], s[22:23], -v[113:114]
	v_add_f64 v[10:11], v[58:59], v[10:11]
	v_add_f64 v[54:55], v[62:63], v[54:55]
	v_fma_f64 v[58:59], v[36:37], s[2:3], -v[72:73]
	v_mul_f64 v[62:63], v[20:21], s[26:27]
	v_fma_f64 v[89:90], v[34:35], s[10:11], -v[83:84]
	v_add_f64 v[56:57], v[79:80], v[56:57]
	v_mul_f64 v[79:80], v[28:29], s[30:31]
	v_fma_f64 v[77:78], v[26:27], s[18:19], v[77:78]
	v_fma_f64 v[95:96], v[34:35], s[22:23], v[95:96]
	v_add_f64 v[60:61], v[113:114], v[60:61]
	v_add_f64 v[58:59], v[58:59], v[10:11]
	v_fma_f64 v[115:116], v[24:25], s[2:3], v[62:63]
	v_add_f64 v[10:11], v[81:82], v[52:53]
	v_mul_f64 v[81:82], v[50:51], s[28:29]
	s_mov_b32 s41, 0x3fedeba7
	v_add_f64 v[56:57], v[77:78], v[56:57]
	v_fma_f64 v[77:78], v[38:39], s[18:19], -v[97:98]
	s_mov_b32 s40, s6
	v_add_f64 v[52:53], v[89:90], v[58:59]
	v_add_f64 v[54:55], v[115:116], v[54:55]
	v_fma_f64 v[58:59], v[32:33], s[10:11], v[79:80]
	v_mul_f64 v[89:90], v[48:49], s[28:29]
	v_add_f64 v[8:9], v[95:96], v[8:9]
	v_fma_f64 v[72:73], v[36:37], s[2:3], v[72:73]
	v_fma_f64 v[95:96], v[44:45], s[22:23], -v[81:82]
	v_mul_f64 v[97:98], v[14:15], s[40:41]
	v_fma_f64 v[62:63], v[24:25], s[2:3], -v[62:63]
	v_fma_f64 v[83:84], v[34:35], s[10:11], v[83:84]
	v_add_f64 v[54:55], v[58:59], v[54:55]
	v_add_f64 v[58:59], v[77:78], v[60:61]
	v_fma_f64 v[60:61], v[46:47], s[22:23], v[89:90]
	v_mul_f64 v[77:78], v[12:13], s[40:41]
	v_add_f64 v[56:57], v[72:73], v[56:57]
	v_add_f64 v[72:73], v[95:96], v[85:86]
	v_fma_f64 v[85:86], v[40:41], s[14:15], -v[97:98]
	v_mul_f64 v[95:96], v[18:19], s[30:31]
	v_mul_f64 v[113:114], v[16:17], s[30:31]
	v_add_f64 v[58:59], v[62:63], v[58:59]
	v_add_f64 v[60:61], v[60:61], v[99:100]
	v_fma_f64 v[99:100], v[42:43], s[14:15], v[77:78]
	v_fma_f64 v[62:63], v[32:33], s[10:11], -v[79:80]
	v_fma_f64 v[81:82], v[44:45], s[22:23], v[81:82]
	v_add_f64 v[72:73], v[85:86], v[72:73]
	v_fma_f64 v[79:80], v[26:27], s[10:11], -v[95:96]
	v_add_f64 v[56:57], v[83:84], v[56:57]
	v_fma_f64 v[83:84], v[38:39], s[10:11], v[113:114]
	v_mul_f64 v[85:86], v[22:23], s[20:21]
	v_add_f64 v[60:61], v[99:100], v[60:61]
	v_add_f64 v[58:59], v[62:63], v[58:59]
	v_fma_f64 v[62:63], v[46:47], s[22:23], -v[89:90]
	v_add_f64 v[75:76], v[81:82], v[75:76]
	v_add_f64 v[72:73], v[79:80], v[72:73]
	v_mul_f64 v[79:80], v[20:21], s[20:21]
	v_fma_f64 v[81:82], v[40:41], s[14:15], v[97:98]
	v_mul_f64 v[89:90], v[30:31], s[16:17]
	v_add_f64 v[60:61], v[83:84], v[60:61]
	v_fma_f64 v[83:84], v[36:37], s[4:5], -v[85:86]
	v_add_f64 v[62:63], v[62:63], v[117:118]
	v_fma_f64 v[77:78], v[42:43], s[14:15], -v[77:78]
	v_mul_f64 v[99:100], v[28:29], s[16:17]
	v_fma_f64 v[97:98], v[24:25], s[4:5], v[79:80]
	v_add_f64 v[75:76], v[81:82], v[75:76]
	v_fma_f64 v[81:82], v[26:27], s[10:11], v[95:96]
	v_mul_f64 v[95:96], v[50:51], s[34:35]
	v_add_f64 v[72:73], v[83:84], v[72:73]
	v_fma_f64 v[83:84], v[34:35], s[18:19], -v[89:90]
	v_add_f64 v[62:63], v[77:78], v[62:63]
	v_fma_f64 v[77:78], v[38:39], s[10:11], -v[113:114]
	v_add_f64 v[97:98], v[97:98], v[60:61]
	v_fma_f64 v[113:114], v[32:33], s[18:19], v[99:100]
	v_add_f64 v[75:76], v[81:82], v[75:76]
	v_fma_f64 v[81:82], v[44:45], s[18:19], -v[95:96]
	v_mul_f64 v[115:116], v[48:49], s[34:35]
	v_mul_f64 v[117:118], v[14:15], s[30:31]
	v_add_f64 v[60:61], v[83:84], v[72:73]
	v_add_f64 v[72:73], v[77:78], v[62:63]
	v_fma_f64 v[77:78], v[36:37], s[4:5], v[85:86]
	v_fma_f64 v[79:80], v[24:25], s[4:5], -v[79:80]
	v_add_f64 v[62:63], v[113:114], v[97:98]
	v_add_f64 v[81:82], v[81:82], v[121:122]
	v_fma_f64 v[83:84], v[46:47], s[18:19], v[115:116]
	v_fma_f64 v[85:86], v[40:41], s[10:11], -v[117:118]
	v_mul_f64 v[97:98], v[12:13], s[30:31]
	v_mul_f64 v[113:114], v[18:19], s[24:25]
	v_add_f64 v[75:76], v[77:78], v[75:76]
	v_fma_f64 v[77:78], v[34:35], s[18:19], v[89:90]
	s_mov_b32 s39, 0x3fcea1e5
	s_mov_b32 s38, s28
	v_add_f64 v[72:73], v[79:80], v[72:73]
	v_fma_f64 v[79:80], v[32:33], s[18:19], -v[99:100]
	v_add_f64 v[83:84], v[83:84], v[101:102]
	v_add_f64 v[81:82], v[85:86], v[81:82]
	v_fma_f64 v[85:86], v[42:43], s[10:11], v[97:98]
	v_fma_f64 v[89:90], v[26:27], s[2:3], -v[113:114]
	v_mul_f64 v[99:100], v[16:17], s[24:25]
	v_fma_f64 v[95:96], v[44:45], s[18:19], v[95:96]
	v_mul_f64 v[101:102], v[22:23], s[38:39]
	v_add_f64 v[75:76], v[77:78], v[75:76]
	v_fma_f64 v[77:78], v[46:47], s[18:19], -v[115:116]
	v_fma_f64 v[97:98], v[42:43], s[10:11], -v[97:98]
	v_add_f64 v[83:84], v[85:86], v[83:84]
	v_add_f64 v[81:82], v[89:90], v[81:82]
	v_fma_f64 v[85:86], v[38:39], s[2:3], v[99:100]
	v_add_f64 v[89:90], v[95:96], v[123:124]
	v_fma_f64 v[95:96], v[40:41], s[10:11], v[117:118]
	v_fma_f64 v[115:116], v[36:37], s[22:23], -v[101:102]
	v_mul_f64 v[117:118], v[20:21], s[38:39]
	v_add_f64 v[93:94], v[77:78], v[93:94]
	s_mov_b32 s37, 0x3fea55e2
	s_mov_b32 s36, s20
	v_mul_f64 v[119:120], v[30:31], s[36:37]
	v_add_f64 v[77:78], v[79:80], v[72:73]
	v_add_f64 v[89:90], v[95:96], v[89:90]
	v_fma_f64 v[95:96], v[26:27], s[2:3], v[113:114]
	v_add_f64 v[72:73], v[85:86], v[83:84]
	v_add_f64 v[79:80], v[115:116], v[81:82]
	v_fma_f64 v[81:82], v[24:25], s[22:23], v[117:118]
	v_add_f64 v[83:84], v[97:98], v[93:94]
	v_fma_f64 v[85:86], v[38:39], s[2:3], -v[99:100]
	v_fma_f64 v[93:94], v[34:35], s[4:5], -v[119:120]
	v_mul_f64 v[97:98], v[50:51], s[26:27]
	v_add_f64 v[89:90], v[95:96], v[89:90]
	v_fma_f64 v[95:96], v[36:37], s[22:23], v[101:102]
	v_mul_f64 v[99:100], v[48:49], s[26:27]
	v_add_f64 v[72:73], v[81:82], v[72:73]
	v_mul_f64 v[81:82], v[28:29], s[36:37]
	v_add_f64 v[83:84], v[85:86], v[83:84]
	v_fma_f64 v[85:86], v[24:25], s[22:23], -v[117:118]
	v_add_f64 v[79:80], v[93:94], v[79:80]
	v_fma_f64 v[93:94], v[44:45], s[2:3], -v[97:98]
	v_add_f64 v[89:90], v[95:96], v[89:90]
	v_fma_f64 v[95:96], v[46:47], s[2:3], v[99:100]
	v_mul_f64 v[101:102], v[14:15], s[20:21]
	v_mul_f64 v[113:114], v[12:13], s[20:21]
	v_fma_f64 v[115:116], v[32:33], s[4:5], v[81:82]
	v_add_f64 v[85:86], v[85:86], v[83:84]
	v_fma_f64 v[117:118], v[32:33], s[4:5], -v[81:82]
	v_mul_f64 v[50:51], v[50:51], s[30:31]
	v_mul_f64 v[48:49], v[48:49], s[30:31]
	v_fma_f64 v[83:84], v[34:35], s[4:5], v[119:120]
	v_add_f64 v[93:94], v[93:94], v[109:110]
	v_add_f64 v[95:96], v[95:96], v[103:104]
	v_fma_f64 v[103:104], v[40:41], s[4:5], -v[101:102]
	v_fma_f64 v[109:110], v[42:43], s[4:5], v[113:114]
	v_mul_f64 v[119:120], v[18:19], s[38:39]
	v_add_f64 v[81:82], v[115:116], v[72:73]
	v_mul_f64 v[72:73], v[16:17], s[38:39]
	v_add_f64 v[85:86], v[117:118], v[85:86]
	v_fma_f64 v[97:98], v[44:45], s[2:3], v[97:98]
	v_fma_f64 v[99:100], v[46:47], s[2:3], -v[99:100]
	v_fma_f64 v[117:118], v[44:45], s[10:11], -v[50:51]
	v_fma_f64 v[44:45], v[44:45], s[10:11], v[50:51]
	v_fma_f64 v[50:51], v[46:47], s[10:11], v[48:49]
	v_fma_f64 v[46:47], v[46:47], s[10:11], -v[48:49]
	v_mul_f64 v[14:15], v[14:15], s[16:17]
	v_mul_f64 v[12:13], v[12:13], s[16:17]
	v_add_f64 v[83:84], v[83:84], v[89:90]
	v_add_f64 v[89:90], v[103:104], v[93:94]
	;; [unrolled: 1-line block ×3, first 2 shown]
	v_fma_f64 v[95:96], v[26:27], s[22:23], -v[119:120]
	v_mul_f64 v[103:104], v[22:23], s[30:31]
	v_fma_f64 v[109:110], v[38:39], s[22:23], v[72:73]
	v_mul_f64 v[115:116], v[20:21], s[30:31]
	v_add_f64 v[97:98], v[97:98], v[125:126]
	v_add_f64 v[91:92], v[99:100], v[91:92]
	;; [unrolled: 1-line block ×4, first 2 shown]
	v_fma_f64 v[99:100], v[40:41], s[4:5], v[101:102]
	v_fma_f64 v[101:102], v[42:43], s[4:5], -v[113:114]
	v_add_f64 v[44:45], v[44:45], v[107:108]
	v_add_f64 v[46:47], v[46:47], v[111:112]
	v_fma_f64 v[105:106], v[40:41], s[18:19], -v[14:15]
	v_fma_f64 v[107:108], v[42:43], s[18:19], v[12:13]
	v_fma_f64 v[14:15], v[40:41], s[18:19], v[14:15]
	v_fma_f64 v[12:13], v[42:43], s[18:19], -v[12:13]
	v_mul_f64 v[18:19], v[18:19], s[36:37]
	v_mul_f64 v[16:17], v[16:17], s[36:37]
	v_add_f64 v[89:90], v[95:96], v[89:90]
	v_fma_f64 v[95:96], v[36:37], s[10:11], -v[103:104]
	v_add_f64 v[93:94], v[109:110], v[93:94]
	v_fma_f64 v[109:110], v[24:25], s[10:11], v[115:116]
	v_add_f64 v[40:41], v[99:100], v[97:98]
	v_add_f64 v[42:43], v[101:102], v[91:92]
	;; [unrolled: 1-line block ×4, first 2 shown]
	v_fma_f64 v[91:92], v[26:27], s[22:23], v[119:120]
	v_fma_f64 v[72:73], v[38:39], s[22:23], -v[72:73]
	v_add_f64 v[14:15], v[14:15], v[44:45]
	v_add_f64 v[12:13], v[12:13], v[46:47]
	v_fma_f64 v[44:45], v[26:27], s[4:5], -v[18:19]
	v_fma_f64 v[46:47], v[38:39], s[4:5], v[16:17]
	v_fma_f64 v[18:19], v[26:27], s[4:5], v[18:19]
	v_fma_f64 v[16:17], v[38:39], s[4:5], -v[16:17]
	v_mul_f64 v[22:23], v[22:23], s[6:7]
	v_mul_f64 v[20:21], v[20:21], s[6:7]
	v_add_f64 v[89:90], v[95:96], v[89:90]
	v_add_f64 v[93:94], v[109:110], v[93:94]
	v_mul_f64 v[95:96], v[30:31], s[6:7]
	v_mul_f64 v[109:110], v[28:29], s[6:7]
	v_add_f64 v[26:27], v[91:92], v[40:41]
	v_add_f64 v[38:39], v[72:73], v[42:43]
	;; [unrolled: 1-line block ×4, first 2 shown]
	v_fma_f64 v[44:45], v[36:37], s[10:11], v[103:104]
	v_fma_f64 v[46:47], v[24:25], s[10:11], -v[115:116]
	v_add_f64 v[14:15], v[18:19], v[14:15]
	v_add_f64 v[12:13], v[16:17], v[12:13]
	v_fma_f64 v[16:17], v[36:37], s[14:15], -v[22:23]
	v_fma_f64 v[18:19], v[24:25], s[14:15], v[20:21]
	v_fma_f64 v[22:23], v[36:37], s[14:15], v[22:23]
	v_fma_f64 v[20:21], v[24:25], s[14:15], -v[20:21]
	v_mul_f64 v[30:31], v[30:31], s[26:27]
	v_mul_f64 v[28:29], v[28:29], s[26:27]
	v_fma_f64 v[48:49], v[34:35], s[14:15], -v[95:96]
	v_fma_f64 v[121:122], v[32:33], s[14:15], v[109:110]
	v_add_f64 v[24:25], v[44:45], v[26:27]
	v_add_f64 v[26:27], v[46:47], v[38:39]
	;; [unrolled: 1-line block ×6, first 2 shown]
	v_fma_f64 v[20:21], v[34:35], s[2:3], -v[30:31]
	v_fma_f64 v[22:23], v[32:33], s[2:3], v[28:29]
	v_fma_f64 v[16:17], v[34:35], s[14:15], v[95:96]
	v_fma_f64 v[18:19], v[32:33], s[14:15], -v[109:110]
	v_fma_f64 v[30:31], v[34:35], s[2:3], v[30:31]
	v_fma_f64 v[28:29], v[32:33], s[2:3], -v[28:29]
	v_add_f64 v[12:13], v[48:49], v[89:90]
	v_add_f64 v[14:15], v[121:122], v[93:94]
	;; [unrolled: 1-line block ×4, first 2 shown]
	s_movk_i32 s33, 0xc0
	v_add_f64 v[16:17], v[16:17], v[24:25]
	v_add_f64 v[18:19], v[18:19], v[26:27]
	;; [unrolled: 1-line block ×4, first 2 shown]
	v_mad_u32_u24 v28, v64, s33, v74
	s_movk_i32 s33, 0x4f
	s_waitcnt lgkmcnt(0)
	; wave barrier
	ds_write_b128 v28, v[4:7]
	ds_write_b128 v28, v[0:3] offset:16
	ds_write_b128 v28, v[52:55] offset:32
	;; [unrolled: 1-line block ×12, first 2 shown]
	v_mul_lo_u16_sdwa v0, v64, s33 dst_sel:DWORD dst_unused:UNUSED_PAD src0_sel:BYTE_0 src1_sel:DWORD
	v_lshrrev_b16_e32 v40, 10, v0
	v_mul_lo_u16_e32 v0, 13, v40
	v_sub_u16_e32 v41, v64, v0
	v_mov_b32_e32 v0, 12
	v_mul_u32_u24_sdwa v0, v41, v0 dst_sel:DWORD dst_unused:UNUSED_PAD src0_sel:BYTE_0 src1_sel:DWORD
	v_lshlrev_b32_e32 v54, 4, v0
	s_waitcnt lgkmcnt(0)
	; wave barrier
	s_waitcnt lgkmcnt(0)
	global_load_dwordx4 v[0:3], v54, s[8:9]
	global_load_dwordx4 v[4:7], v54, s[8:9] offset:16
	global_load_dwordx4 v[8:11], v54, s[8:9] offset:32
	global_load_dwordx4 v[12:15], v54, s[8:9] offset:48
	global_load_dwordx4 v[16:19], v54, s[8:9] offset:64
	global_load_dwordx4 v[20:23], v54, s[8:9] offset:80
	global_load_dwordx4 v[24:27], v54, s[8:9] offset:96
	global_load_dwordx4 v[28:31], v54, s[8:9] offset:112
	global_load_dwordx4 v[32:35], v54, s[8:9] offset:128
	global_load_dwordx4 v[36:39], v54, s[8:9] offset:144
	global_load_dwordx4 v[50:53], v54, s[8:9] offset:160
	v_lshl_add_u32 v77, v68, 4, 0
	global_load_dwordx4 v[54:57], v54, s[8:9] offset:176
	ds_read_b128 v[42:45], v77
	v_lshl_add_u32 v76, v71, 4, 0
	ds_read_b128 v[46:49], v76
	v_lshl_add_u32 v75, v70, 4, 0
	ds_read_b128 v[58:61], v75
	v_cmp_gt_u32_e32 vcc, 13, v64
	s_waitcnt vmcnt(11) lgkmcnt(2)
	v_mul_f64 v[62:63], v[44:45], v[2:3]
	v_mul_f64 v[2:3], v[42:43], v[2:3]
	s_waitcnt vmcnt(10) lgkmcnt(1)
	v_mul_f64 v[72:73], v[48:49], v[6:7]
	v_mul_f64 v[6:7], v[46:47], v[6:7]
	s_waitcnt vmcnt(9) lgkmcnt(0)
	v_mul_f64 v[80:81], v[60:61], v[10:11]
	v_mul_f64 v[10:11], v[58:59], v[10:11]
	v_fma_f64 v[62:63], v[42:43], v[0:1], -v[62:63]
	v_fma_f64 v[78:79], v[44:45], v[0:1], v[2:3]
	ds_read_b128 v[0:3], v74
	ds_read_b128 v[42:45], v74 offset:3328
	v_fma_f64 v[46:47], v[46:47], v[4:5], -v[72:73]
	v_fma_f64 v[48:49], v[48:49], v[4:5], v[6:7]
	v_fma_f64 v[58:59], v[58:59], v[8:9], -v[80:81]
	v_fma_f64 v[60:61], v[60:61], v[8:9], v[10:11]
	s_waitcnt vmcnt(8) lgkmcnt(0)
	v_mul_f64 v[80:81], v[44:45], v[14:15]
	v_add_f64 v[72:73], v[0:1], v[62:63]
	v_add_f64 v[82:83], v[2:3], v[78:79]
	v_mul_f64 v[14:15], v[42:43], v[14:15]
	ds_read_b128 v[4:7], v74 offset:4160
	ds_read_b128 v[8:11], v74 offset:4992
	v_fma_f64 v[42:43], v[42:43], v[12:13], -v[80:81]
	v_add_f64 v[72:73], v[72:73], v[46:47]
	v_add_f64 v[82:83], v[82:83], v[48:49]
	s_waitcnt vmcnt(7) lgkmcnt(1)
	v_mul_f64 v[84:85], v[6:7], v[18:19]
	v_mul_f64 v[18:19], v[4:5], v[18:19]
	v_fma_f64 v[44:45], v[44:45], v[12:13], v[14:15]
	ds_read_b128 v[12:15], v74 offset:6656
	v_add_f64 v[72:73], v[72:73], v[58:59]
	v_add_f64 v[80:81], v[82:83], v[60:61]
	v_fma_f64 v[82:83], v[4:5], v[16:17], -v[84:85]
	v_fma_f64 v[84:85], v[6:7], v[16:17], v[18:19]
	s_waitcnt vmcnt(6) lgkmcnt(1)
	v_mul_f64 v[16:17], v[10:11], v[22:23]
	v_mul_f64 v[18:19], v[8:9], v[22:23]
	ds_read_b128 v[4:7], v74 offset:5824
	v_add_f64 v[22:23], v[72:73], v[42:43]
	v_add_f64 v[72:73], v[80:81], v[44:45]
	s_waitcnt vmcnt(5) lgkmcnt(0)
	v_mul_f64 v[80:81], v[6:7], v[26:27]
	v_mul_f64 v[26:27], v[4:5], v[26:27]
	v_fma_f64 v[86:87], v[8:9], v[20:21], -v[16:17]
	v_fma_f64 v[88:89], v[10:11], v[20:21], v[18:19]
	s_waitcnt vmcnt(4)
	v_mul_f64 v[20:21], v[14:15], v[30:31]
	v_add_f64 v[16:17], v[22:23], v[82:83]
	v_add_f64 v[18:19], v[72:73], v[84:85]
	v_mul_f64 v[22:23], v[12:13], v[30:31]
	v_fma_f64 v[72:73], v[4:5], v[24:25], -v[80:81]
	v_fma_f64 v[80:81], v[6:7], v[24:25], v[26:27]
	ds_read_b128 v[4:7], v74 offset:7488
	ds_read_b128 v[8:11], v74 offset:8320
	v_fma_f64 v[90:91], v[12:13], v[28:29], -v[20:21]
	v_add_f64 v[16:17], v[16:17], v[86:87]
	v_add_f64 v[18:19], v[18:19], v[88:89]
	s_waitcnt vmcnt(3) lgkmcnt(1)
	v_mul_f64 v[24:25], v[6:7], v[34:35]
	v_mul_f64 v[26:27], v[4:5], v[34:35]
	v_fma_f64 v[34:35], v[14:15], v[28:29], v[22:23]
	s_waitcnt vmcnt(2) lgkmcnt(0)
	v_mul_f64 v[20:21], v[10:11], v[38:39]
	v_mul_f64 v[22:23], v[8:9], v[38:39]
	v_add_f64 v[128:129], v[86:87], v[72:73]
	v_add_f64 v[16:17], v[16:17], v[72:73]
	v_add_f64 v[18:19], v[18:19], v[80:81]
	v_fma_f64 v[30:31], v[4:5], v[32:33], -v[24:25]
	v_fma_f64 v[26:27], v[6:7], v[32:33], v[26:27]
	ds_read_b128 v[4:7], v74 offset:9152
	ds_read_b128 v[12:15], v74 offset:9984
	v_fma_f64 v[24:25], v[8:9], v[36:37], -v[20:21]
	v_fma_f64 v[28:29], v[10:11], v[36:37], v[22:23]
	v_add_f64 v[72:73], v[86:87], -v[72:73]
	v_add_f64 v[16:17], v[16:17], v[90:91]
	v_add_f64 v[18:19], v[18:19], v[34:35]
	s_waitcnt vmcnt(1) lgkmcnt(1)
	v_mul_f64 v[8:9], v[6:7], v[52:53]
	s_waitcnt vmcnt(0) lgkmcnt(0)
	v_mul_f64 v[10:11], v[12:13], v[56:57]
	v_mul_f64 v[20:21], v[4:5], v[52:53]
	s_waitcnt lgkmcnt(0)
	; wave barrier
	v_add_f64 v[16:17], v[16:17], v[30:31]
	v_add_f64 v[18:19], v[18:19], v[26:27]
	v_fma_f64 v[22:23], v[4:5], v[50:51], -v[8:9]
	v_mul_f64 v[4:5], v[14:15], v[56:57]
	v_fma_f64 v[8:9], v[14:15], v[54:55], v[10:11]
	v_fma_f64 v[14:15], v[6:7], v[50:51], v[20:21]
	v_add_f64 v[6:7], v[16:17], v[24:25]
	v_add_f64 v[10:11], v[18:19], v[28:29]
	v_fma_f64 v[12:13], v[12:13], v[54:55], -v[4:5]
	v_add_f64 v[16:17], v[78:79], -v[8:9]
	v_add_f64 v[32:33], v[78:79], v[8:9]
	v_add_f64 v[4:5], v[6:7], v[22:23]
	;; [unrolled: 1-line block ×4, first 2 shown]
	v_mul_f64 v[18:19], v[16:17], s[42:43]
	v_mul_f64 v[20:21], v[16:17], s[24:25]
	;; [unrolled: 1-line block ×3, first 2 shown]
	v_add_f64 v[4:5], v[4:5], v[12:13]
	v_add_f64 v[6:7], v[6:7], v[8:9]
	v_mul_f64 v[8:9], v[16:17], s[20:21]
	v_add_f64 v[12:13], v[62:63], -v[12:13]
	v_fma_f64 v[36:37], v[10:11], s[10:11], -v[18:19]
	v_fma_f64 v[50:51], v[10:11], s[10:11], v[18:19]
	v_mul_f64 v[18:19], v[16:17], s[6:7]
	v_mul_f64 v[16:17], v[16:17], s[28:29]
	v_fma_f64 v[56:57], v[10:11], s[2:3], -v[20:21]
	v_fma_f64 v[62:63], v[10:11], s[2:3], v[20:21]
	v_fma_f64 v[52:53], v[10:11], s[4:5], -v[8:9]
	v_fma_f64 v[54:55], v[10:11], s[4:5], v[8:9]
	v_mul_f64 v[8:9], v[12:13], s[42:43]
	v_fma_f64 v[94:95], v[10:11], s[18:19], -v[38:39]
	v_fma_f64 v[78:79], v[10:11], s[14:15], -v[18:19]
	v_fma_f64 v[92:93], v[10:11], s[14:15], v[18:19]
	v_fma_f64 v[96:97], v[10:11], s[18:19], v[38:39]
	v_fma_f64 v[98:99], v[10:11], s[22:23], -v[16:17]
	v_fma_f64 v[100:101], v[10:11], s[22:23], v[16:17]
	v_add_f64 v[10:11], v[48:49], -v[14:15]
	v_mul_f64 v[16:17], v[12:13], s[20:21]
	v_fma_f64 v[18:19], v[32:33], s[10:11], v[8:9]
	v_mul_f64 v[20:21], v[12:13], s[24:25]
	v_fma_f64 v[102:103], v[32:33], s[10:11], -v[8:9]
	v_mul_f64 v[38:39], v[12:13], s[6:7]
	v_mul_f64 v[104:105], v[12:13], s[16:17]
	;; [unrolled: 1-line block ×3, first 2 shown]
	v_add_f64 v[8:9], v[46:47], v[22:23]
	v_mul_f64 v[114:115], v[10:11], s[20:21]
	v_add_f64 v[12:13], v[46:47], -v[22:23]
	v_fma_f64 v[108:109], v[32:33], s[4:5], v[16:17]
	v_fma_f64 v[110:111], v[32:33], s[4:5], -v[16:17]
	v_fma_f64 v[112:113], v[32:33], s[2:3], v[20:21]
	v_fma_f64 v[46:47], v[32:33], s[2:3], -v[20:21]
	v_add_f64 v[20:21], v[60:61], -v[28:29]
	v_fma_f64 v[116:117], v[32:33], s[14:15], v[38:39]
	v_fma_f64 v[118:119], v[32:33], s[14:15], -v[38:39]
	v_add_f64 v[36:37], v[0:1], v[36:37]
	v_add_f64 v[16:17], v[48:49], v[14:15]
	v_fma_f64 v[38:39], v[8:9], s[4:5], -v[114:115]
	v_mul_f64 v[48:49], v[12:13], s[20:21]
	v_add_f64 v[22:23], v[58:59], -v[24:25]
	v_add_f64 v[14:15], v[58:59], v[24:25]
	v_mul_f64 v[120:121], v[20:21], s[24:25]
	v_add_f64 v[24:25], v[2:3], v[18:19]
	v_add_f64 v[18:19], v[60:61], v[28:29]
	v_add_f64 v[28:29], v[44:45], -v[26:27]
	v_add_f64 v[36:37], v[38:39], v[36:37]
	v_fma_f64 v[38:39], v[16:17], s[4:5], v[48:49]
	v_mul_f64 v[122:123], v[22:23], s[24:25]
	v_fma_f64 v[58:59], v[32:33], s[18:19], v[104:105]
	v_fma_f64 v[104:105], v[32:33], s[18:19], -v[104:105]
	v_fma_f64 v[60:61], v[14:15], s[2:3], -v[120:121]
	v_fma_f64 v[124:125], v[32:33], s[22:23], v[106:107]
	v_fma_f64 v[106:107], v[32:33], s[22:23], -v[106:107]
	v_add_f64 v[26:27], v[44:45], v[26:27]
	v_add_f64 v[32:33], v[38:39], v[24:25]
	v_fma_f64 v[38:39], v[18:19], s[2:3], v[122:123]
	v_add_f64 v[24:25], v[42:43], v[30:31]
	v_add_f64 v[30:31], v[42:43], -v[30:31]
	v_mul_f64 v[42:43], v[28:29], s[6:7]
	v_add_f64 v[36:37], v[60:61], v[36:37]
	v_add_f64 v[50:51], v[0:1], v[50:51]
	;; [unrolled: 1-line block ×6, first 2 shown]
	v_mul_f64 v[44:45], v[30:31], s[6:7]
	v_fma_f64 v[38:39], v[24:25], s[14:15], -v[42:43]
	v_add_f64 v[116:117], v[2:3], v[58:59]
	v_fma_f64 v[42:43], v[24:25], s[14:15], v[42:43]
	v_add_f64 v[52:53], v[0:1], v[52:53]
	v_add_f64 v[54:55], v[0:1], v[54:55]
	;; [unrolled: 1-line block ×6, first 2 shown]
	v_fma_f64 v[36:37], v[26:27], s[14:15], v[44:45]
	v_add_f64 v[38:39], v[82:83], -v[90:91]
	v_add_f64 v[92:93], v[0:1], v[92:93]
	v_add_f64 v[94:95], v[0:1], v[94:95]
	;; [unrolled: 1-line block ×7, first 2 shown]
	v_add_f64 v[36:37], v[84:85], -v[34:35]
	v_add_f64 v[32:33], v[84:85], v[34:35]
	v_add_f64 v[34:35], v[82:83], v[90:91]
	;; [unrolled: 1-line block ×3, first 2 shown]
	v_mul_f64 v[82:83], v[36:37], s[16:17]
	v_fma_f64 v[84:85], v[34:35], s[18:19], -v[82:83]
	v_fma_f64 v[82:83], v[34:35], s[18:19], v[82:83]
	v_add_f64 v[60:61], v[84:85], v[60:61]
	v_mul_f64 v[84:85], v[38:39], s[16:17]
	v_fma_f64 v[90:91], v[32:33], s[18:19], v[84:85]
	v_add_f64 v[90:91], v[90:91], v[126:127]
	v_add_f64 v[126:127], v[88:89], -v[80:81]
	v_add_f64 v[88:89], v[88:89], v[80:81]
	v_fma_f64 v[80:81], v[8:9], s[4:5], v[114:115]
	v_add_f64 v[114:115], v[2:3], v[118:119]
	v_add_f64 v[118:119], v[2:3], v[124:125]
	v_mul_f64 v[58:59], v[126:127], s[28:29]
	v_add_f64 v[50:51], v[80:81], v[50:51]
	v_add_f64 v[80:81], v[2:3], v[102:103]
	;; [unrolled: 1-line block ×4, first 2 shown]
	v_fma_f64 v[46:47], v[16:17], s[4:5], -v[48:49]
	v_fma_f64 v[48:49], v[14:15], s[2:3], v[120:121]
	v_fma_f64 v[120:121], v[26:27], s[14:15], -v[44:45]
	v_mul_f64 v[2:3], v[10:11], s[6:7]
	v_add_f64 v[46:47], v[46:47], v[80:81]
	v_fma_f64 v[80:81], v[18:19], s[2:3], -v[122:123]
	v_add_f64 v[48:49], v[48:49], v[50:51]
	v_mul_f64 v[50:51], v[72:73], s[28:29]
	v_mul_f64 v[122:123], v[12:13], s[6:7]
	v_add_f64 v[0:1], v[80:81], v[46:47]
	v_fma_f64 v[46:47], v[128:129], s[22:23], -v[58:59]
	v_add_f64 v[48:49], v[42:43], v[48:49]
	v_fma_f64 v[80:81], v[88:89], s[22:23], v[50:51]
	v_fma_f64 v[58:59], v[128:129], s[22:23], v[58:59]
	v_fma_f64 v[50:51], v[88:89], s[22:23], -v[50:51]
	v_add_f64 v[0:1], v[120:121], v[0:1]
	v_add_f64 v[42:43], v[46:47], v[60:61]
	;; [unrolled: 1-line block ×4, first 2 shown]
	v_fma_f64 v[48:49], v[32:33], s[18:19], -v[84:85]
	v_fma_f64 v[60:61], v[8:9], s[14:15], -v[2:3]
	v_fma_f64 v[80:81], v[16:17], s[14:15], v[122:123]
	v_mul_f64 v[82:83], v[20:21], s[28:29]
	v_mul_f64 v[84:85], v[22:23], s[28:29]
	;; [unrolled: 1-line block ×3, first 2 shown]
	v_add_f64 v[48:49], v[48:49], v[0:1]
	v_add_f64 v[0:1], v[60:61], v[52:53]
	;; [unrolled: 1-line block ×3, first 2 shown]
	v_fma_f64 v[60:61], v[14:15], s[22:23], -v[82:83]
	v_fma_f64 v[80:81], v[18:19], s[22:23], v[84:85]
	v_mul_f64 v[86:87], v[28:29], s[34:35]
	v_fma_f64 v[84:85], v[18:19], s[22:23], -v[84:85]
	v_add_f64 v[0:1], v[60:61], v[0:1]
	v_add_f64 v[52:53], v[80:81], v[52:53]
	v_fma_f64 v[60:61], v[24:25], s[18:19], -v[86:87]
	v_mul_f64 v[80:81], v[30:31], s[34:35]
	v_fma_f64 v[86:87], v[24:25], s[18:19], v[86:87]
	v_add_f64 v[0:1], v[60:61], v[0:1]
	v_fma_f64 v[60:61], v[26:27], s[18:19], v[80:81]
	v_fma_f64 v[80:81], v[26:27], s[18:19], -v[80:81]
	v_add_f64 v[52:53], v[60:61], v[52:53]
	v_mul_f64 v[60:61], v[36:37], s[26:27]
	v_fma_f64 v[90:91], v[34:35], s[2:3], -v[60:61]
	v_fma_f64 v[60:61], v[34:35], s[2:3], v[60:61]
	v_add_f64 v[90:91], v[90:91], v[0:1]
	v_fma_f64 v[0:1], v[32:33], s[2:3], v[120:121]
	v_add_f64 v[52:53], v[0:1], v[52:53]
	v_fma_f64 v[0:1], v[8:9], s[14:15], v[2:3]
	v_fma_f64 v[2:3], v[16:17], s[14:15], -v[122:123]
	v_add_f64 v[0:1], v[0:1], v[54:55]
	v_fma_f64 v[54:55], v[14:15], s[22:23], v[82:83]
	v_add_f64 v[2:3], v[2:3], v[102:103]
	v_mul_f64 v[82:83], v[126:127], s[30:31]
	v_mul_f64 v[102:103], v[72:73], s[30:31]
	v_add_f64 v[54:55], v[54:55], v[0:1]
	v_add_f64 v[0:1], v[58:59], v[46:47]
	v_add_f64 v[58:59], v[84:85], v[2:3]
	v_fma_f64 v[46:47], v[128:129], s[10:11], -v[82:83]
	v_fma_f64 v[84:85], v[88:89], s[10:11], v[102:103]
	v_add_f64 v[2:3], v[50:51], v[48:49]
	v_mul_f64 v[50:51], v[10:11], s[28:29]
	v_fma_f64 v[82:83], v[128:129], s[10:11], v[82:83]
	v_add_f64 v[54:55], v[86:87], v[54:55]
	v_mul_f64 v[86:87], v[12:13], s[28:29]
	v_fma_f64 v[102:103], v[88:89], s[10:11], -v[102:103]
	v_add_f64 v[46:47], v[46:47], v[90:91]
	v_add_f64 v[48:49], v[84:85], v[52:53]
	;; [unrolled: 1-line block ×3, first 2 shown]
	v_fma_f64 v[58:59], v[32:33], s[2:3], -v[120:121]
	v_mul_f64 v[84:85], v[20:21], s[40:41]
	v_add_f64 v[54:55], v[60:61], v[54:55]
	v_fma_f64 v[60:61], v[8:9], s[22:23], -v[50:51]
	v_fma_f64 v[80:81], v[16:17], s[22:23], v[86:87]
	v_mul_f64 v[90:91], v[22:23], s[40:41]
	v_fma_f64 v[50:51], v[8:9], s[22:23], v[50:51]
	v_add_f64 v[52:53], v[58:59], v[52:53]
	v_add_f64 v[56:57], v[60:61], v[56:57]
	;; [unrolled: 1-line block ×3, first 2 shown]
	v_fma_f64 v[60:61], v[14:15], s[14:15], -v[84:85]
	v_fma_f64 v[80:81], v[18:19], s[14:15], v[90:91]
	v_mul_f64 v[108:109], v[28:29], s[30:31]
	v_add_f64 v[50:51], v[50:51], v[62:63]
	v_fma_f64 v[62:63], v[16:17], s[22:23], -v[86:87]
	v_fma_f64 v[84:85], v[14:15], s[14:15], v[84:85]
	v_mul_f64 v[86:87], v[126:127], s[16:17]
	v_fma_f64 v[90:91], v[18:19], s[14:15], -v[90:91]
	v_add_f64 v[56:57], v[60:61], v[56:57]
	v_add_f64 v[58:59], v[80:81], v[58:59]
	v_fma_f64 v[60:61], v[24:25], s[10:11], -v[108:109]
	v_mul_f64 v[80:81], v[30:31], s[30:31]
	v_add_f64 v[62:63], v[62:63], v[110:111]
	v_add_f64 v[84:85], v[84:85], v[50:51]
	v_fma_f64 v[108:109], v[24:25], s[10:11], v[108:109]
	v_mul_f64 v[110:111], v[72:73], s[16:17]
	v_add_f64 v[50:51], v[82:83], v[54:55]
	v_fma_f64 v[54:55], v[128:129], s[18:19], -v[86:87]
	v_add_f64 v[56:57], v[60:61], v[56:57]
	v_fma_f64 v[60:61], v[26:27], s[10:11], v[80:81]
	v_add_f64 v[62:63], v[90:91], v[62:63]
	v_fma_f64 v[80:81], v[26:27], s[10:11], -v[80:81]
	v_add_f64 v[82:83], v[108:109], v[84:85]
	v_fma_f64 v[84:85], v[88:89], s[18:19], v[110:111]
	v_add_f64 v[52:53], v[102:103], v[52:53]
	v_mul_f64 v[90:91], v[10:11], s[34:35]
	v_mul_f64 v[102:103], v[12:13], s[34:35]
	v_add_f64 v[58:59], v[60:61], v[58:59]
	v_mul_f64 v[60:61], v[36:37], s[20:21]
	v_mul_f64 v[108:109], v[22:23], s[30:31]
	v_fma_f64 v[86:87], v[128:129], s[18:19], v[86:87]
	v_fma_f64 v[110:111], v[88:89], s[18:19], -v[110:111]
	v_fma_f64 v[120:121], v[34:35], s[4:5], -v[60:61]
	v_fma_f64 v[60:61], v[34:35], s[4:5], v[60:61]
	v_add_f64 v[56:57], v[120:121], v[56:57]
	v_mul_f64 v[120:121], v[38:39], s[20:21]
	v_add_f64 v[60:61], v[60:61], v[82:83]
	v_fma_f64 v[82:83], v[16:17], s[18:19], v[102:103]
	v_fma_f64 v[102:103], v[16:17], s[18:19], -v[102:103]
	v_add_f64 v[54:55], v[54:55], v[56:57]
	v_fma_f64 v[122:123], v[32:33], s[4:5], v[120:121]
	v_add_f64 v[102:103], v[102:103], v[114:115]
	v_mul_f64 v[114:115], v[38:39], s[38:39]
	v_add_f64 v[58:59], v[122:123], v[58:59]
	v_add_f64 v[56:57], v[84:85], v[58:59]
	;; [unrolled: 1-line block ×3, first 2 shown]
	v_fma_f64 v[62:63], v[32:33], s[4:5], -v[120:121]
	v_fma_f64 v[80:81], v[8:9], s[18:19], -v[90:91]
	v_mul_f64 v[84:85], v[20:21], s[30:31]
	v_add_f64 v[62:63], v[62:63], v[58:59]
	v_add_f64 v[58:59], v[80:81], v[78:79]
	;; [unrolled: 1-line block ×3, first 2 shown]
	v_fma_f64 v[80:81], v[14:15], s[10:11], -v[84:85]
	v_fma_f64 v[82:83], v[18:19], s[10:11], v[108:109]
	v_mul_f64 v[112:113], v[28:29], s[24:25]
	v_fma_f64 v[84:85], v[14:15], s[10:11], v[84:85]
	v_fma_f64 v[108:109], v[18:19], s[10:11], -v[108:109]
	v_add_f64 v[58:59], v[80:81], v[58:59]
	v_add_f64 v[78:79], v[82:83], v[78:79]
	v_fma_f64 v[80:81], v[24:25], s[2:3], -v[112:113]
	v_mul_f64 v[82:83], v[30:31], s[24:25]
	v_add_f64 v[102:103], v[108:109], v[102:103]
	v_fma_f64 v[108:109], v[24:25], s[2:3], v[112:113]
	v_mul_f64 v[112:113], v[72:73], s[36:37]
	v_add_f64 v[58:59], v[80:81], v[58:59]
	v_fma_f64 v[80:81], v[26:27], s[2:3], v[82:83]
	v_fma_f64 v[82:83], v[26:27], s[2:3], -v[82:83]
	v_add_f64 v[78:79], v[80:81], v[78:79]
	v_fma_f64 v[80:81], v[8:9], s[18:19], v[90:91]
	v_mul_f64 v[90:91], v[36:37], s[38:39]
	v_add_f64 v[82:83], v[82:83], v[102:103]
	v_fma_f64 v[102:103], v[32:33], s[22:23], -v[114:115]
	v_add_f64 v[80:81], v[80:81], v[92:93]
	v_fma_f64 v[92:93], v[34:35], s[22:23], -v[90:91]
	v_fma_f64 v[90:91], v[34:35], s[22:23], v[90:91]
	v_add_f64 v[80:81], v[84:85], v[80:81]
	v_add_f64 v[92:93], v[92:93], v[58:59]
	v_fma_f64 v[58:59], v[32:33], s[22:23], v[114:115]
	v_mul_f64 v[84:85], v[126:127], s[36:37]
	v_mul_f64 v[114:115], v[30:31], s[38:39]
	;; [unrolled: 1-line block ×3, first 2 shown]
	v_add_f64 v[108:109], v[108:109], v[80:81]
	v_fma_f64 v[80:81], v[88:89], s[4:5], v[112:113]
	v_add_f64 v[120:121], v[58:59], v[78:79]
	v_fma_f64 v[78:79], v[128:129], s[4:5], -v[84:85]
	v_add_f64 v[58:59], v[86:87], v[60:61]
	v_add_f64 v[60:61], v[110:111], v[62:63]
	v_mul_f64 v[62:63], v[10:11], s[26:27]
	v_mul_f64 v[86:87], v[12:13], s[26:27]
	v_add_f64 v[90:91], v[90:91], v[108:109]
	v_mul_f64 v[108:109], v[20:21], s[20:21]
	v_mul_f64 v[10:11], v[10:11], s[30:31]
	v_add_f64 v[78:79], v[78:79], v[92:93]
	v_add_f64 v[92:93], v[102:103], v[82:83]
	v_fma_f64 v[82:83], v[128:129], s[4:5], v[84:85]
	v_fma_f64 v[84:85], v[88:89], s[4:5], -v[112:113]
	v_fma_f64 v[102:103], v[8:9], s[2:3], -v[62:63]
	v_fma_f64 v[110:111], v[16:17], s[2:3], v[86:87]
	v_mul_f64 v[112:113], v[22:23], s[20:21]
	v_fma_f64 v[86:87], v[16:17], s[2:3], -v[86:87]
	v_fma_f64 v[62:63], v[8:9], s[2:3], v[62:63]
	v_mul_f64 v[12:13], v[12:13], s[30:31]
	v_add_f64 v[82:83], v[82:83], v[90:91]
	v_add_f64 v[84:85], v[84:85], v[92:93]
	;; [unrolled: 1-line block ×3, first 2 shown]
	v_fma_f64 v[92:93], v[14:15], s[4:5], -v[108:109]
	v_add_f64 v[94:95], v[110:111], v[116:117]
	v_fma_f64 v[102:103], v[18:19], s[4:5], v[112:113]
	v_add_f64 v[86:87], v[86:87], v[104:105]
	v_fma_f64 v[104:105], v[14:15], s[4:5], v[108:109]
	v_fma_f64 v[108:109], v[18:19], s[4:5], -v[112:113]
	v_add_f64 v[62:63], v[62:63], v[96:97]
	v_mul_f64 v[96:97], v[38:39], s[30:31]
	v_add_f64 v[90:91], v[92:93], v[90:91]
	v_mul_f64 v[110:111], v[28:29], s[38:39]
	v_add_f64 v[92:93], v[102:103], v[94:95]
	v_fma_f64 v[102:103], v[26:27], s[22:23], v[114:115]
	v_fma_f64 v[112:113], v[8:9], s[10:11], -v[10:11]
	v_add_f64 v[86:87], v[108:109], v[86:87]
	v_fma_f64 v[108:109], v[26:27], s[22:23], -v[114:115]
	v_fma_f64 v[114:115], v[16:17], s[10:11], v[12:13]
	v_mul_f64 v[20:21], v[20:21], s[16:17]
	v_mul_f64 v[22:23], v[22:23], s[16:17]
	v_fma_f64 v[8:9], v[8:9], s[10:11], v[10:11]
	v_add_f64 v[92:93], v[102:103], v[92:93]
	v_fma_f64 v[102:103], v[32:33], s[10:11], v[96:97]
	v_fma_f64 v[96:97], v[32:33], s[10:11], -v[96:97]
	v_add_f64 v[86:87], v[108:109], v[86:87]
	v_fma_f64 v[10:11], v[16:17], s[10:11], -v[12:13]
	v_fma_f64 v[94:95], v[24:25], s[22:23], -v[110:111]
	v_mul_f64 v[116:117], v[36:37], s[30:31]
	v_add_f64 v[12:13], v[112:113], v[98:99]
	v_add_f64 v[16:17], v[114:115], v[118:119]
	v_fma_f64 v[98:99], v[18:19], s[18:19], v[22:23]
	v_mul_f64 v[28:29], v[28:29], s[36:37]
	v_add_f64 v[86:87], v[96:97], v[86:87]
	v_fma_f64 v[96:97], v[14:15], s[18:19], -v[20:21]
	v_add_f64 v[8:9], v[8:9], v[100:101]
	v_fma_f64 v[14:15], v[14:15], s[18:19], v[20:21]
	v_add_f64 v[10:11], v[10:11], v[106:107]
	v_fma_f64 v[18:19], v[18:19], s[18:19], -v[22:23]
	v_add_f64 v[90:91], v[94:95], v[90:91]
	v_fma_f64 v[94:95], v[34:35], s[10:11], -v[116:117]
	v_add_f64 v[16:17], v[98:99], v[16:17]
	v_add_f64 v[12:13], v[96:97], v[12:13]
	v_fma_f64 v[20:21], v[24:25], s[4:5], -v[28:29]
	v_fma_f64 v[22:23], v[26:27], s[4:5], v[30:31]
	v_mul_f64 v[36:37], v[36:37], s[6:7]
	v_mul_f64 v[38:39], v[38:39], s[6:7]
	v_add_f64 v[8:9], v[14:15], v[8:9]
	v_fma_f64 v[14:15], v[24:25], s[4:5], v[28:29]
	v_add_f64 v[10:11], v[18:19], v[10:11]
	v_fma_f64 v[18:19], v[26:27], s[4:5], -v[30:31]
	v_add_f64 v[62:63], v[104:105], v[62:63]
	v_fma_f64 v[104:105], v[24:25], s[22:23], v[110:111]
	v_add_f64 v[90:91], v[94:95], v[90:91]
	v_add_f64 v[92:93], v[102:103], v[92:93]
	v_mul_f64 v[94:95], v[126:127], s[6:7]
	v_mul_f64 v[102:103], v[72:73], s[6:7]
	v_add_f64 v[12:13], v[20:21], v[12:13]
	v_add_f64 v[16:17], v[22:23], v[16:17]
	v_fma_f64 v[20:21], v[34:35], s[14:15], -v[36:37]
	v_fma_f64 v[22:23], v[32:33], s[14:15], v[38:39]
	v_mul_f64 v[24:25], v[126:127], s[26:27]
	v_add_f64 v[8:9], v[14:15], v[8:9]
	v_fma_f64 v[14:15], v[34:35], s[14:15], v[36:37]
	v_mul_f64 v[26:27], v[72:73], s[26:27]
	v_add_f64 v[10:11], v[18:19], v[10:11]
	v_fma_f64 v[18:19], v[32:33], s[14:15], -v[38:39]
	v_add_f64 v[62:63], v[104:105], v[62:63]
	v_fma_f64 v[104:105], v[34:35], s[10:11], v[116:117]
	v_fma_f64 v[108:109], v[128:129], s[14:15], -v[94:95]
	v_fma_f64 v[110:111], v[88:89], s[14:15], v[102:103]
	v_add_f64 v[20:21], v[20:21], v[12:13]
	v_add_f64 v[22:23], v[22:23], v[16:17]
	v_fma_f64 v[16:17], v[128:129], s[2:3], -v[24:25]
	v_add_f64 v[34:35], v[14:15], v[8:9]
	v_fma_f64 v[24:25], v[128:129], s[2:3], v[24:25]
	v_fma_f64 v[32:33], v[88:89], s[2:3], v[26:27]
	v_add_f64 v[36:37], v[18:19], v[10:11]
	v_fma_f64 v[26:27], v[88:89], s[2:3], -v[26:27]
	v_add_f64 v[62:63], v[104:105], v[62:63]
	v_fma_f64 v[28:29], v[128:129], s[14:15], v[94:95]
	v_fma_f64 v[30:31], v[88:89], s[14:15], -v[102:103]
	v_add_f64 v[80:81], v[80:81], v[120:121]
	v_add_f64 v[8:9], v[108:109], v[90:91]
	;; [unrolled: 1-line block ×5, first 2 shown]
	v_mov_b32_e32 v24, 4
	v_add_f64 v[18:19], v[32:33], v[22:23]
	v_lshlrev_b32_sdwa v24, v24, v41 dst_sel:DWORD dst_unused:UNUSED_PAD src0_sel:DWORD src1_sel:BYTE_0
	v_mul_u32_u24_e32 v25, 0xa90, v40
	v_add_f64 v[22:23], v[26:27], v[36:37]
	v_add3_u32 v24, 0, v25, v24
	v_add_f64 v[12:13], v[28:29], v[62:63]
	v_add_f64 v[14:15], v[30:31], v[86:87]
	ds_write_b128 v24, v[4:7]
	ds_write_b128 v24, v[42:45] offset:208
	ds_write_b128 v24, v[46:49] offset:416
	;; [unrolled: 1-line block ×12, first 2 shown]
	s_waitcnt lgkmcnt(0)
	; wave barrier
	s_waitcnt lgkmcnt(0)
	ds_read_b128 v[24:27], v74
	ds_read_b128 v[60:63], v74 offset:2704
	ds_read_b128 v[44:47], v74 offset:5408
	;; [unrolled: 1-line block ×3, first 2 shown]
	ds_read_b128 v[20:23], v77
	ds_read_b128 v[16:19], v76
	ds_read_b128 v[48:51], v74 offset:3536
	ds_read_b128 v[32:35], v74 offset:4368
	ds_read_b128 v[56:59], v74 offset:8112
	ds_read_b128 v[36:39], v74 offset:7072
	ds_read_b128 v[52:55], v74 offset:8944
	ds_read_b128 v[40:43], v74 offset:9776
                                        ; implicit-def: $vgpr6_vgpr7
                                        ; implicit-def: $vgpr10_vgpr11
                                        ; implicit-def: $vgpr14_vgpr15
	s_and_saveexec_b64 s[2:3], vcc
	s_cbranch_execz .LBB0_15
; %bb.14:
	ds_read_b128 v[0:3], v75
	ds_read_b128 v[4:7], v74 offset:5200
	ds_read_b128 v[8:11], v74 offset:7904
	;; [unrolled: 1-line block ×3, first 2 shown]
.LBB0_15:
	s_or_b64 exec, exec, s[2:3]
	v_mul_i32_i24_e32 v72, 3, v68
	v_mov_b32_e32 v73, 0
	v_mul_u32_u24_e32 v65, 3, v64
	v_lshlrev_b64 v[86:87], 4, v[72:73]
	v_lshlrev_b32_e32 v65, 4, v65
	global_load_dwordx4 v[78:81], v65, s[8:9] offset:2512
	global_load_dwordx4 v[82:85], v65, s[8:9] offset:2496
	v_mov_b32_e32 v69, s9
	v_add_co_u32_e64 v102, s[2:3], s8, v86
	v_addc_co_u32_e64 v103, s[2:3], v69, v87, s[2:3]
	global_load_dwordx4 v[86:89], v[102:103], off offset:2528
	global_load_dwordx4 v[90:93], v[102:103], off offset:2512
	global_load_dwordx4 v[94:97], v65, s[8:9] offset:2528
	global_load_dwordx4 v[98:101], v[102:103], off offset:2496
	v_mul_i32_i24_e32 v72, 3, v71
	v_lshlrev_b64 v[102:103], 4, v[72:73]
	v_add_co_u32_e64 v114, s[2:3], s8, v102
	v_addc_co_u32_e64 v115, s[2:3], v69, v103, s[2:3]
	global_load_dwordx4 v[102:105], v[114:115], off offset:2496
	global_load_dwordx4 v[106:109], v[114:115], off offset:2512
	;; [unrolled: 1-line block ×3, first 2 shown]
	s_waitcnt lgkmcnt(0)
	; wave barrier
	s_waitcnt vmcnt(8) lgkmcnt(0)
	v_mul_f64 v[116:117], v[46:47], v[80:81]
	s_waitcnt vmcnt(7)
	v_mul_f64 v[114:115], v[62:63], v[84:85]
	v_mul_f64 v[84:85], v[60:61], v[84:85]
	;; [unrolled: 1-line block ×3, first 2 shown]
	s_waitcnt vmcnt(6)
	v_mul_f64 v[124:125], v[54:55], v[88:89]
	s_waitcnt vmcnt(5)
	v_mul_f64 v[122:123], v[30:31], v[92:93]
	;; [unrolled: 2-line block ×3, first 2 shown]
	v_mul_f64 v[96:97], v[56:57], v[96:97]
	s_waitcnt vmcnt(3)
	v_mul_f64 v[120:121], v[50:51], v[100:101]
	v_mul_f64 v[100:101], v[48:49], v[100:101]
	;; [unrolled: 1-line block ×4, first 2 shown]
	v_fma_f64 v[60:61], v[60:61], v[82:83], -v[114:115]
	s_waitcnt vmcnt(2)
	v_mul_f64 v[126:127], v[34:35], v[104:105]
	v_mul_f64 v[104:105], v[32:33], v[104:105]
	v_fma_f64 v[62:63], v[62:63], v[82:83], v[84:85]
	s_waitcnt vmcnt(1)
	v_mul_f64 v[82:83], v[38:39], v[108:109]
	v_mul_f64 v[84:85], v[36:37], v[108:109]
	s_waitcnt vmcnt(0)
	v_mul_f64 v[108:109], v[42:43], v[112:113]
	v_mul_f64 v[112:113], v[40:41], v[112:113]
	v_fma_f64 v[44:45], v[44:45], v[78:79], -v[116:117]
	v_fma_f64 v[46:47], v[46:47], v[78:79], v[80:81]
	v_fma_f64 v[56:57], v[56:57], v[94:95], -v[118:119]
	v_fma_f64 v[58:59], v[58:59], v[94:95], v[96:97]
	;; [unrolled: 2-line block ×8, first 2 shown]
	v_add_f64 v[44:45], v[24:25], -v[44:45]
	v_add_f64 v[46:47], v[26:27], -v[46:47]
	v_add_f64 v[56:57], v[60:61], -v[56:57]
	v_add_f64 v[58:59], v[62:63], -v[58:59]
	v_add_f64 v[78:79], v[20:21], -v[28:29]
	v_add_f64 v[80:81], v[22:23], -v[30:31]
	v_add_f64 v[28:29], v[48:49], -v[52:53]
	v_add_f64 v[30:31], v[50:51], -v[54:55]
	v_add_f64 v[52:53], v[16:17], -v[36:37]
	v_add_f64 v[54:55], v[18:19], -v[38:39]
	v_add_f64 v[36:37], v[32:33], -v[40:41]
	v_add_f64 v[38:39], v[34:35], -v[42:43]
	v_fma_f64 v[82:83], v[24:25], 2.0, -v[44:45]
	v_fma_f64 v[84:85], v[26:27], 2.0, -v[46:47]
	;; [unrolled: 1-line block ×4, first 2 shown]
	v_add_f64 v[24:25], v[44:45], -v[58:59]
	v_add_f64 v[26:27], v[46:47], v[56:57]
	v_fma_f64 v[56:57], v[20:21], 2.0, -v[78:79]
	v_fma_f64 v[58:59], v[22:23], 2.0, -v[80:81]
	;; [unrolled: 1-line block ×8, first 2 shown]
	v_add_f64 v[20:21], v[78:79], -v[30:31]
	v_add_f64 v[22:23], v[80:81], v[28:29]
	v_add_f64 v[28:29], v[82:83], -v[40:41]
	v_add_f64 v[30:31], v[84:85], -v[42:43]
	v_fma_f64 v[32:33], v[44:45], 2.0, -v[24:25]
	v_fma_f64 v[34:35], v[46:47], 2.0, -v[26:27]
	ds_write_b128 v74, v[24:27] offset:8112
	v_add_f64 v[24:25], v[56:57], -v[48:49]
	v_add_f64 v[26:27], v[58:59], -v[50:51]
	;; [unrolled: 1-line block ×3, first 2 shown]
	v_add_f64 v[18:19], v[54:55], v[36:37]
	v_add_f64 v[40:41], v[60:61], -v[86:87]
	v_add_f64 v[42:43], v[62:63], -v[88:89]
	v_fma_f64 v[48:49], v[82:83], 2.0, -v[28:29]
	v_fma_f64 v[50:51], v[84:85], 2.0, -v[30:31]
	;; [unrolled: 1-line block ×4, first 2 shown]
	ds_write_b128 v74, v[32:35] offset:2704
	v_fma_f64 v[32:33], v[56:57], 2.0, -v[24:25]
	v_fma_f64 v[34:35], v[58:59], 2.0, -v[26:27]
	;; [unrolled: 1-line block ×4, first 2 shown]
	ds_write_b128 v74, v[28:31] offset:5408
	v_fma_f64 v[28:29], v[60:61], 2.0, -v[40:41]
	v_fma_f64 v[30:31], v[62:63], 2.0, -v[42:43]
	ds_write_b128 v74, v[48:51]
	ds_write_b128 v77, v[36:39] offset:2704
	ds_write_b128 v77, v[24:27] offset:5408
	;; [unrolled: 1-line block ×3, first 2 shown]
	ds_write_b128 v77, v[32:35]
	ds_write_b128 v76, v[44:47] offset:2704
	ds_write_b128 v76, v[40:43] offset:5408
	ds_write_b128 v76, v[28:31]
	ds_write_b128 v76, v[16:19] offset:8112
	s_and_saveexec_b64 s[2:3], vcc
	s_cbranch_execz .LBB0_17
; %bb.16:
	v_add_u32_e32 v16, -13, v64
	v_cndmask_b32_e32 v16, v16, v70, vcc
	v_mul_i32_i24_e32 v72, 3, v16
	v_lshlrev_b64 v[16:17], 4, v[72:73]
	v_mov_b32_e32 v18, s9
	v_add_co_u32_e32 v28, vcc, s8, v16
	v_addc_co_u32_e32 v29, vcc, v18, v17, vcc
	global_load_dwordx4 v[16:19], v[28:29], off offset:2512
	global_load_dwordx4 v[20:23], v[28:29], off offset:2496
	global_load_dwordx4 v[24:27], v[28:29], off offset:2528
	s_waitcnt vmcnt(2)
	v_mul_f64 v[28:29], v[8:9], v[18:19]
	s_waitcnt vmcnt(1)
	v_mul_f64 v[30:31], v[6:7], v[22:23]
	v_mul_f64 v[22:23], v[4:5], v[22:23]
	s_waitcnt vmcnt(0)
	v_mul_f64 v[32:33], v[12:13], v[26:27]
	v_mul_f64 v[18:19], v[10:11], v[18:19]
	;; [unrolled: 1-line block ×3, first 2 shown]
	v_fma_f64 v[10:11], v[10:11], v[16:17], v[28:29]
	v_fma_f64 v[4:5], v[4:5], v[20:21], -v[30:31]
	v_fma_f64 v[6:7], v[6:7], v[20:21], v[22:23]
	v_fma_f64 v[14:15], v[14:15], v[24:25], v[32:33]
	v_fma_f64 v[8:9], v[8:9], v[16:17], -v[18:19]
	v_fma_f64 v[12:13], v[12:13], v[24:25], -v[26:27]
	v_add_f64 v[10:11], v[2:3], -v[10:11]
	v_add_f64 v[14:15], v[6:7], -v[14:15]
	;; [unrolled: 1-line block ×4, first 2 shown]
	v_fma_f64 v[16:17], v[2:3], 2.0, -v[10:11]
	v_fma_f64 v[6:7], v[6:7], 2.0, -v[14:15]
	;; [unrolled: 1-line block ×4, first 2 shown]
	v_add_f64 v[2:3], v[10:11], v[12:13]
	v_add_f64 v[0:1], v[8:9], -v[14:15]
	v_add_f64 v[6:7], v[16:17], -v[6:7]
	;; [unrolled: 1-line block ×3, first 2 shown]
	v_fma_f64 v[10:11], v[10:11], 2.0, -v[2:3]
	v_fma_f64 v[8:9], v[8:9], 2.0, -v[0:1]
	;; [unrolled: 1-line block ×4, first 2 shown]
	ds_write_b128 v74, v[8:11] offset:5200
	ds_write_b128 v74, v[4:7] offset:7904
	;; [unrolled: 1-line block ×4, first 2 shown]
.LBB0_17:
	s_or_b64 exec, exec, s[2:3]
	s_waitcnt lgkmcnt(0)
	; wave barrier
	s_waitcnt lgkmcnt(0)
	ds_read_b128 v[4:7], v74
	s_add_u32 s4, s8, 0x2970
	v_lshlrev_b32_e32 v0, 4, v64
	s_addc_u32 s5, s9, 0
	v_sub_u32_e32 v12, 0, v0
	v_cmp_ne_u32_e32 vcc, 0, v64
                                        ; implicit-def: $vgpr2_vgpr3
                                        ; implicit-def: $vgpr10_vgpr11
                                        ; implicit-def: $vgpr8_vgpr9
	s_and_saveexec_b64 s[2:3], vcc
	s_xor_b64 s[2:3], exec, s[2:3]
	s_cbranch_execz .LBB0_19
; %bb.18:
	v_mov_b32_e32 v65, 0
	v_lshlrev_b64 v[0:1], 4, v[64:65]
	v_mov_b32_e32 v2, s5
	v_add_co_u32_e32 v0, vcc, s4, v0
	v_addc_co_u32_e32 v1, vcc, v2, v1, vcc
	global_load_dwordx4 v[0:3], v[0:1], off
	ds_read_b128 v[8:11], v12 offset:10816
	s_waitcnt lgkmcnt(0)
	v_add_f64 v[13:14], v[4:5], -v[8:9]
	v_add_f64 v[15:16], v[6:7], v[10:11]
	v_add_f64 v[6:7], v[6:7], -v[10:11]
	v_add_f64 v[4:5], v[4:5], v[8:9]
	v_mul_f64 v[13:14], v[13:14], 0.5
	v_mul_f64 v[8:9], v[15:16], 0.5
	;; [unrolled: 1-line block ×3, first 2 shown]
	s_waitcnt vmcnt(0)
	v_mul_f64 v[10:11], v[13:14], v[2:3]
	v_fma_f64 v[15:16], v[8:9], v[2:3], v[6:7]
	v_fma_f64 v[2:3], v[8:9], v[2:3], -v[6:7]
	v_fma_f64 v[17:18], v[4:5], 0.5, v[10:11]
	v_fma_f64 v[4:5], v[4:5], 0.5, -v[10:11]
	v_fma_f64 v[10:11], -v[0:1], v[13:14], v[15:16]
	v_fma_f64 v[2:3], -v[0:1], v[13:14], v[2:3]
	v_fma_f64 v[6:7], v[8:9], v[0:1], v[17:18]
	v_fma_f64 v[0:1], -v[8:9], v[0:1], v[4:5]
	v_mov_b32_e32 v8, v64
	v_mov_b32_e32 v9, v65
                                        ; implicit-def: $vgpr4_vgpr5
	ds_write_b64 v74, v[6:7]
.LBB0_19:
	s_andn2_saveexec_b64 s[2:3], s[2:3]
	s_cbranch_execz .LBB0_21
; %bb.20:
	s_waitcnt lgkmcnt(0)
	v_add_f64 v[2:3], v[4:5], v[6:7]
	v_mov_b32_e32 v15, 0
	ds_read_b64 v[13:14], v15 offset:5416
	v_add_f64 v[0:1], v[4:5], -v[6:7]
	v_mov_b32_e32 v10, 0
	v_mov_b32_e32 v8, 0
	;; [unrolled: 1-line block ×3, first 2 shown]
	s_waitcnt lgkmcnt(0)
	v_xor_b32_e32 v14, 0x80000000, v14
	ds_write_b64 v15, v[13:14] offset:5416
	ds_write_b64 v74, v[2:3]
	v_mov_b32_e32 v2, v10
	v_mov_b32_e32 v9, 0
	;; [unrolled: 1-line block ×3, first 2 shown]
.LBB0_21:
	s_or_b64 exec, exec, s[2:3]
	v_mov_b32_e32 v69, 0
	s_waitcnt lgkmcnt(0)
	v_lshlrev_b64 v[4:5], 4, v[68:69]
	v_mov_b32_e32 v6, s5
	v_add_co_u32_e32 v4, vcc, s4, v4
	v_addc_co_u32_e32 v5, vcc, v6, v5, vcc
	global_load_dwordx4 v[4:7], v[4:5], off
	v_mov_b32_e32 v72, v69
	v_lshlrev_b64 v[13:14], 4, v[71:72]
	v_mov_b32_e32 v15, s5
	v_add_co_u32_e32 v13, vcc, s4, v13
	v_addc_co_u32_e32 v14, vcc, v15, v14, vcc
	global_load_dwordx4 v[13:16], v[13:14], off
	ds_write_b64 v74, v[10:11] offset:8
	ds_write_b128 v12, v[0:3] offset:10816
	ds_read_b128 v[17:20], v77
	ds_read_b128 v[21:24], v12 offset:9984
	v_lshlrev_b64 v[0:1], 4, v[8:9]
	v_mov_b32_e32 v71, v69
	v_mov_b32_e32 v8, s5
	v_add_co_u32_e32 v27, vcc, s4, v0
	s_waitcnt lgkmcnt(0)
	v_add_f64 v[2:3], v[17:18], -v[21:22]
	v_add_f64 v[25:26], v[19:20], v[23:24]
	v_add_f64 v[19:20], v[19:20], -v[23:24]
	v_add_f64 v[17:18], v[17:18], v[21:22]
	v_lshlrev_b64 v[23:24], 4, v[70:71]
	v_addc_co_u32_e32 v28, vcc, v8, v1, vcc
	v_mov_b32_e32 v35, s5
	v_mul_f64 v[2:3], v[2:3], 0.5
	v_mul_f64 v[25:26], v[25:26], 0.5
	;; [unrolled: 1-line block ×3, first 2 shown]
	global_load_dwordx4 v[8:11], v[27:28], off offset:3328
	s_movk_i32 s2, 0x1000
	s_waitcnt vmcnt(2)
	v_mul_f64 v[21:22], v[2:3], v[6:7]
	v_fma_f64 v[29:30], v[25:26], v[6:7], v[19:20]
	v_fma_f64 v[6:7], v[25:26], v[6:7], -v[19:20]
	v_fma_f64 v[31:32], v[17:18], 0.5, v[21:22]
	v_fma_f64 v[33:34], v[17:18], 0.5, -v[21:22]
	v_add_co_u32_e32 v17, vcc, s4, v23
	v_addc_co_u32_e32 v18, vcc, v35, v24, vcc
	global_load_dwordx4 v[17:20], v[17:18], off
	v_fma_f64 v[23:24], -v[4:5], v[2:3], v[29:30]
	v_fma_f64 v[21:22], v[25:26], v[4:5], v[31:32]
	v_fma_f64 v[6:7], -v[4:5], v[2:3], v[6:7]
	v_fma_f64 v[4:5], -v[25:26], v[4:5], v[33:34]
	ds_write_b128 v77, v[21:24]
	ds_write_b128 v12, v[4:7] offset:9984
	ds_read_b128 v[2:5], v76
	ds_read_b128 v[21:24], v12 offset:9152
	s_waitcnt lgkmcnt(0)
	v_add_f64 v[6:7], v[2:3], -v[21:22]
	v_add_f64 v[25:26], v[4:5], v[23:24]
	v_add_f64 v[4:5], v[4:5], -v[23:24]
	v_add_f64 v[2:3], v[2:3], v[21:22]
	v_mul_f64 v[6:7], v[6:7], 0.5
	v_mul_f64 v[23:24], v[25:26], 0.5
	;; [unrolled: 1-line block ×3, first 2 shown]
	s_waitcnt vmcnt(2)
	v_mul_f64 v[21:22], v[6:7], v[15:16]
	v_fma_f64 v[25:26], v[23:24], v[15:16], v[4:5]
	v_fma_f64 v[15:16], v[23:24], v[15:16], -v[4:5]
	v_fma_f64 v[29:30], v[2:3], 0.5, v[21:22]
	v_fma_f64 v[21:22], v[2:3], 0.5, -v[21:22]
	v_fma_f64 v[4:5], -v[13:14], v[6:7], v[25:26]
	v_fma_f64 v[15:16], -v[13:14], v[6:7], v[15:16]
	v_fma_f64 v[2:3], v[23:24], v[13:14], v[29:30]
	v_fma_f64 v[13:14], -v[23:24], v[13:14], v[21:22]
	ds_write_b128 v76, v[2:5]
	ds_write_b128 v12, v[13:16] offset:9152
	ds_read_b128 v[2:5], v75
	ds_read_b128 v[13:16], v12 offset:8320
	s_waitcnt lgkmcnt(0)
	v_add_f64 v[6:7], v[2:3], -v[13:14]
	v_add_f64 v[21:22], v[4:5], v[15:16]
	v_add_f64 v[4:5], v[4:5], -v[15:16]
	v_add_f64 v[2:3], v[2:3], v[13:14]
	v_mul_f64 v[23:24], v[6:7], 0.5
	v_mul_f64 v[21:22], v[21:22], 0.5
	;; [unrolled: 1-line block ×3, first 2 shown]
	s_waitcnt vmcnt(0)
	v_mul_f64 v[6:7], v[23:24], v[19:20]
	v_fma_f64 v[13:14], v[21:22], v[19:20], v[4:5]
	v_fma_f64 v[19:20], v[21:22], v[19:20], -v[4:5]
	v_fma_f64 v[25:26], v[2:3], 0.5, v[6:7]
	v_fma_f64 v[29:30], v[2:3], 0.5, -v[6:7]
	v_add_co_u32_e32 v2, vcc, s2, v27
	v_addc_co_u32_e32 v3, vcc, 0, v28, vcc
	global_load_dwordx4 v[4:7], v[2:3], off offset:64
	v_fma_f64 v[15:16], -v[17:18], v[23:24], v[13:14]
	v_fma_f64 v[13:14], v[21:22], v[17:18], v[25:26]
	v_fma_f64 v[19:20], -v[17:18], v[23:24], v[19:20]
	v_fma_f64 v[17:18], -v[21:22], v[17:18], v[29:30]
	v_cmp_gt_u32_e32 vcc, 26, v64
	ds_write_b128 v75, v[13:16]
	ds_write_b128 v12, v[17:20] offset:8320
	ds_read_b128 v[13:16], v74 offset:3328
	ds_read_b128 v[17:20], v12 offset:7488
	s_waitcnt lgkmcnt(0)
	v_add_f64 v[21:22], v[13:14], -v[17:18]
	v_add_f64 v[23:24], v[15:16], v[19:20]
	v_add_f64 v[15:16], v[15:16], -v[19:20]
	v_add_f64 v[13:14], v[13:14], v[17:18]
	v_mul_f64 v[19:20], v[21:22], 0.5
	v_mul_f64 v[21:22], v[23:24], 0.5
	;; [unrolled: 1-line block ×3, first 2 shown]
	v_mul_f64 v[17:18], v[19:20], v[10:11]
	v_fma_f64 v[23:24], v[21:22], v[10:11], v[15:16]
	v_fma_f64 v[10:11], v[21:22], v[10:11], -v[15:16]
	v_fma_f64 v[25:26], v[13:14], 0.5, v[17:18]
	v_fma_f64 v[17:18], v[13:14], 0.5, -v[17:18]
	v_fma_f64 v[15:16], -v[8:9], v[19:20], v[23:24]
	v_fma_f64 v[10:11], -v[8:9], v[19:20], v[10:11]
	v_fma_f64 v[13:14], v[21:22], v[8:9], v[25:26]
	v_fma_f64 v[8:9], -v[21:22], v[8:9], v[17:18]
	ds_write_b128 v74, v[13:16] offset:3328
	ds_write_b128 v12, v[8:11] offset:7488
	ds_read_b128 v[8:11], v74 offset:4160
	ds_read_b128 v[13:16], v12 offset:6656
	s_waitcnt lgkmcnt(0)
	v_add_f64 v[17:18], v[8:9], -v[13:14]
	v_add_f64 v[19:20], v[10:11], v[15:16]
	v_add_f64 v[10:11], v[10:11], -v[15:16]
	v_add_f64 v[8:9], v[8:9], v[13:14]
	v_mul_f64 v[15:16], v[17:18], 0.5
	v_mul_f64 v[17:18], v[19:20], 0.5
	;; [unrolled: 1-line block ×3, first 2 shown]
	s_waitcnt vmcnt(0)
	v_mul_f64 v[13:14], v[15:16], v[6:7]
	v_fma_f64 v[19:20], v[17:18], v[6:7], v[10:11]
	v_fma_f64 v[6:7], v[17:18], v[6:7], -v[10:11]
	v_fma_f64 v[10:11], v[8:9], 0.5, v[13:14]
	v_fma_f64 v[13:14], v[8:9], 0.5, -v[13:14]
	v_fma_f64 v[8:9], -v[4:5], v[15:16], v[19:20]
	v_fma_f64 v[15:16], -v[4:5], v[15:16], v[6:7]
	v_fma_f64 v[6:7], v[17:18], v[4:5], v[10:11]
	v_fma_f64 v[13:14], -v[17:18], v[4:5], v[13:14]
	ds_write_b128 v74, v[6:9] offset:4160
	ds_write_b128 v12, v[13:16] offset:6656
	s_and_saveexec_b64 s[2:3], vcc
	s_cbranch_execz .LBB0_23
; %bb.22:
	global_load_dwordx4 v[2:5], v[2:3], off offset:896
	ds_read_b128 v[6:9], v74 offset:4992
	ds_read_b128 v[13:16], v12 offset:5824
	s_waitcnt lgkmcnt(0)
	v_add_f64 v[10:11], v[6:7], -v[13:14]
	v_add_f64 v[17:18], v[8:9], v[15:16]
	v_add_f64 v[8:9], v[8:9], -v[15:16]
	v_add_f64 v[6:7], v[6:7], v[13:14]
	v_mul_f64 v[10:11], v[10:11], 0.5
	v_mul_f64 v[15:16], v[17:18], 0.5
	;; [unrolled: 1-line block ×3, first 2 shown]
	s_waitcnt vmcnt(0)
	v_mul_f64 v[13:14], v[10:11], v[4:5]
	v_fma_f64 v[17:18], v[15:16], v[4:5], v[8:9]
	v_fma_f64 v[4:5], v[15:16], v[4:5], -v[8:9]
	v_fma_f64 v[8:9], v[6:7], 0.5, v[13:14]
	v_fma_f64 v[13:14], v[6:7], 0.5, -v[13:14]
	v_fma_f64 v[6:7], -v[2:3], v[10:11], v[17:18]
	v_fma_f64 v[10:11], -v[2:3], v[10:11], v[4:5]
	v_fma_f64 v[4:5], v[15:16], v[2:3], v[8:9]
	v_fma_f64 v[8:9], -v[15:16], v[2:3], v[13:14]
	ds_write_b128 v74, v[4:7] offset:4992
	ds_write_b128 v12, v[8:11] offset:5824
.LBB0_23:
	s_or_b64 exec, exec, s[2:3]
	s_waitcnt lgkmcnt(0)
	; wave barrier
	s_waitcnt lgkmcnt(0)
	s_and_saveexec_b64 s[2:3], s[0:1]
	s_cbranch_execz .LBB0_26
; %bb.24:
	ds_read_b128 v[4:7], v74
	v_mov_b32_e32 v2, s13
	v_add_co_u32_e32 v3, vcc, s12, v66
	v_addc_co_u32_e32 v2, vcc, v2, v67, vcc
	v_add_co_u32_e32 v0, vcc, v3, v0
	v_addc_co_u32_e32 v1, vcc, v2, v1, vcc
	ds_read_b128 v[8:11], v74 offset:832
	ds_read_b128 v[12:15], v74 offset:1664
	;; [unrolled: 1-line block ×3, first 2 shown]
	s_waitcnt lgkmcnt(3)
	global_store_dwordx4 v[0:1], v[4:7], off
	ds_read_b128 v[4:7], v74 offset:3328
	s_waitcnt lgkmcnt(3)
	global_store_dwordx4 v[0:1], v[8:11], off offset:832
	s_waitcnt lgkmcnt(2)
	global_store_dwordx4 v[0:1], v[12:15], off offset:1664
	;; [unrolled: 2-line block ×3, first 2 shown]
	ds_read_b128 v[8:11], v74 offset:4160
	s_waitcnt lgkmcnt(1)
	global_store_dwordx4 v[0:1], v[4:7], off offset:3328
	ds_read_b128 v[4:7], v74 offset:4992
	ds_read_b128 v[12:15], v74 offset:5824
	ds_read_b128 v[16:19], v74 offset:6656
	ds_read_b128 v[20:23], v74 offset:7488
	s_movk_i32 s0, 0x1000
	v_add_co_u32_e32 v24, vcc, s0, v0
	v_addc_co_u32_e32 v25, vcc, 0, v1, vcc
	s_waitcnt lgkmcnt(4)
	global_store_dwordx4 v[24:25], v[8:11], off offset:64
	s_waitcnt lgkmcnt(3)
	global_store_dwordx4 v[24:25], v[4:7], off offset:896
	;; [unrolled: 2-line block ×5, first 2 shown]
	ds_read_b128 v[4:7], v74 offset:8320
	ds_read_b128 v[8:11], v74 offset:9152
	;; [unrolled: 1-line block ×3, first 2 shown]
	v_add_co_u32_e32 v0, vcc, 0x2000, v0
	v_addc_co_u32_e32 v1, vcc, 0, v1, vcc
	v_cmp_eq_u32_e32 vcc, 51, v64
	s_waitcnt lgkmcnt(2)
	global_store_dwordx4 v[0:1], v[4:7], off offset:128
	s_waitcnt lgkmcnt(1)
	global_store_dwordx4 v[0:1], v[8:11], off offset:960
	;; [unrolled: 2-line block ×3, first 2 shown]
	s_and_b64 exec, exec, vcc
	s_cbranch_execz .LBB0_26
; %bb.25:
	v_mov_b32_e32 v0, 0
	ds_read_b128 v[4:7], v0 offset:10816
	v_add_co_u32_e32 v0, vcc, 0x2000, v3
	v_addc_co_u32_e32 v1, vcc, 0, v2, vcc
	s_waitcnt lgkmcnt(0)
	global_store_dwordx4 v[0:1], v[4:7], off offset:2624
.LBB0_26:
	s_endpgm
	.section	.rodata,"a",@progbits
	.p2align	6, 0x0
	.amdhsa_kernel fft_rtc_fwd_len676_factors_13_13_4_wgs_52_tpt_52_dp_ip_CI_unitstride_sbrr_R2C_dirReg
		.amdhsa_group_segment_fixed_size 0
		.amdhsa_private_segment_fixed_size 0
		.amdhsa_kernarg_size 88
		.amdhsa_user_sgpr_count 6
		.amdhsa_user_sgpr_private_segment_buffer 1
		.amdhsa_user_sgpr_dispatch_ptr 0
		.amdhsa_user_sgpr_queue_ptr 0
		.amdhsa_user_sgpr_kernarg_segment_ptr 1
		.amdhsa_user_sgpr_dispatch_id 0
		.amdhsa_user_sgpr_flat_scratch_init 0
		.amdhsa_user_sgpr_private_segment_size 0
		.amdhsa_uses_dynamic_stack 0
		.amdhsa_system_sgpr_private_segment_wavefront_offset 0
		.amdhsa_system_sgpr_workgroup_id_x 1
		.amdhsa_system_sgpr_workgroup_id_y 0
		.amdhsa_system_sgpr_workgroup_id_z 0
		.amdhsa_system_sgpr_workgroup_info 0
		.amdhsa_system_vgpr_workitem_id 0
		.amdhsa_next_free_vgpr 130
		.amdhsa_next_free_sgpr 44
		.amdhsa_reserve_vcc 1
		.amdhsa_reserve_flat_scratch 0
		.amdhsa_float_round_mode_32 0
		.amdhsa_float_round_mode_16_64 0
		.amdhsa_float_denorm_mode_32 3
		.amdhsa_float_denorm_mode_16_64 3
		.amdhsa_dx10_clamp 1
		.amdhsa_ieee_mode 1
		.amdhsa_fp16_overflow 0
		.amdhsa_exception_fp_ieee_invalid_op 0
		.amdhsa_exception_fp_denorm_src 0
		.amdhsa_exception_fp_ieee_div_zero 0
		.amdhsa_exception_fp_ieee_overflow 0
		.amdhsa_exception_fp_ieee_underflow 0
		.amdhsa_exception_fp_ieee_inexact 0
		.amdhsa_exception_int_div_zero 0
	.end_amdhsa_kernel
	.text
.Lfunc_end0:
	.size	fft_rtc_fwd_len676_factors_13_13_4_wgs_52_tpt_52_dp_ip_CI_unitstride_sbrr_R2C_dirReg, .Lfunc_end0-fft_rtc_fwd_len676_factors_13_13_4_wgs_52_tpt_52_dp_ip_CI_unitstride_sbrr_R2C_dirReg
                                        ; -- End function
	.section	.AMDGPU.csdata,"",@progbits
; Kernel info:
; codeLenInByte = 12736
; NumSgprs: 48
; NumVgprs: 130
; ScratchSize: 0
; MemoryBound: 0
; FloatMode: 240
; IeeeMode: 1
; LDSByteSize: 0 bytes/workgroup (compile time only)
; SGPRBlocks: 5
; VGPRBlocks: 32
; NumSGPRsForWavesPerEU: 48
; NumVGPRsForWavesPerEU: 130
; Occupancy: 1
; WaveLimiterHint : 1
; COMPUTE_PGM_RSRC2:SCRATCH_EN: 0
; COMPUTE_PGM_RSRC2:USER_SGPR: 6
; COMPUTE_PGM_RSRC2:TRAP_HANDLER: 0
; COMPUTE_PGM_RSRC2:TGID_X_EN: 1
; COMPUTE_PGM_RSRC2:TGID_Y_EN: 0
; COMPUTE_PGM_RSRC2:TGID_Z_EN: 0
; COMPUTE_PGM_RSRC2:TIDIG_COMP_CNT: 0
	.type	__hip_cuid_4e06de366fd23f71,@object ; @__hip_cuid_4e06de366fd23f71
	.section	.bss,"aw",@nobits
	.globl	__hip_cuid_4e06de366fd23f71
__hip_cuid_4e06de366fd23f71:
	.byte	0                               ; 0x0
	.size	__hip_cuid_4e06de366fd23f71, 1

	.ident	"AMD clang version 19.0.0git (https://github.com/RadeonOpenCompute/llvm-project roc-6.4.0 25133 c7fe45cf4b819c5991fe208aaa96edf142730f1d)"
	.section	".note.GNU-stack","",@progbits
	.addrsig
	.addrsig_sym __hip_cuid_4e06de366fd23f71
	.amdgpu_metadata
---
amdhsa.kernels:
  - .args:
      - .actual_access:  read_only
        .address_space:  global
        .offset:         0
        .size:           8
        .value_kind:     global_buffer
      - .offset:         8
        .size:           8
        .value_kind:     by_value
      - .actual_access:  read_only
        .address_space:  global
        .offset:         16
        .size:           8
        .value_kind:     global_buffer
      - .actual_access:  read_only
        .address_space:  global
        .offset:         24
        .size:           8
        .value_kind:     global_buffer
      - .offset:         32
        .size:           8
        .value_kind:     by_value
      - .actual_access:  read_only
        .address_space:  global
        .offset:         40
        .size:           8
        .value_kind:     global_buffer
      - .actual_access:  read_only
        .address_space:  global
        .offset:         48
        .size:           8
        .value_kind:     global_buffer
      - .offset:         56
        .size:           4
        .value_kind:     by_value
      - .actual_access:  read_only
        .address_space:  global
        .offset:         64
        .size:           8
        .value_kind:     global_buffer
      - .actual_access:  read_only
        .address_space:  global
        .offset:         72
        .size:           8
        .value_kind:     global_buffer
      - .address_space:  global
        .offset:         80
        .size:           8
        .value_kind:     global_buffer
    .group_segment_fixed_size: 0
    .kernarg_segment_align: 8
    .kernarg_segment_size: 88
    .language:       OpenCL C
    .language_version:
      - 2
      - 0
    .max_flat_workgroup_size: 52
    .name:           fft_rtc_fwd_len676_factors_13_13_4_wgs_52_tpt_52_dp_ip_CI_unitstride_sbrr_R2C_dirReg
    .private_segment_fixed_size: 0
    .sgpr_count:     48
    .sgpr_spill_count: 0
    .symbol:         fft_rtc_fwd_len676_factors_13_13_4_wgs_52_tpt_52_dp_ip_CI_unitstride_sbrr_R2C_dirReg.kd
    .uniform_work_group_size: 1
    .uses_dynamic_stack: false
    .vgpr_count:     130
    .vgpr_spill_count: 0
    .wavefront_size: 64
amdhsa.target:   amdgcn-amd-amdhsa--gfx906
amdhsa.version:
  - 1
  - 2
...

	.end_amdgpu_metadata
